;; amdgpu-corpus repo=ROCm/rocFFT kind=compiled arch=gfx1030 opt=O3
	.text
	.amdgcn_target "amdgcn-amd-amdhsa--gfx1030"
	.amdhsa_code_object_version 6
	.protected	fft_rtc_fwd_len2040_factors_17_4_3_10_wgs_170_tpt_170_halfLds_half_op_CI_CI_unitstride_sbrr_R2C_dirReg ; -- Begin function fft_rtc_fwd_len2040_factors_17_4_3_10_wgs_170_tpt_170_halfLds_half_op_CI_CI_unitstride_sbrr_R2C_dirReg
	.globl	fft_rtc_fwd_len2040_factors_17_4_3_10_wgs_170_tpt_170_halfLds_half_op_CI_CI_unitstride_sbrr_R2C_dirReg
	.p2align	8
	.type	fft_rtc_fwd_len2040_factors_17_4_3_10_wgs_170_tpt_170_halfLds_half_op_CI_CI_unitstride_sbrr_R2C_dirReg,@function
fft_rtc_fwd_len2040_factors_17_4_3_10_wgs_170_tpt_170_halfLds_half_op_CI_CI_unitstride_sbrr_R2C_dirReg: ; @fft_rtc_fwd_len2040_factors_17_4_3_10_wgs_170_tpt_170_halfLds_half_op_CI_CI_unitstride_sbrr_R2C_dirReg
; %bb.0:
	s_clause 0x2
	s_load_dwordx4 s[12:15], s[4:5], 0x0
	s_load_dwordx4 s[8:11], s[4:5], 0x58
	;; [unrolled: 1-line block ×3, first 2 shown]
	v_mul_u32_u24_e32 v1, 0x182, v0
	v_mov_b32_e32 v3, 0
	v_mov_b32_e32 v7, 0
	;; [unrolled: 1-line block ×3, first 2 shown]
	v_add_nc_u32_sdwa v9, s6, v1 dst_sel:DWORD dst_unused:UNUSED_PAD src0_sel:DWORD src1_sel:WORD_1
	v_mov_b32_e32 v10, v3
	s_waitcnt lgkmcnt(0)
	v_cmp_lt_u64_e64 s0, s[14:15], 2
	s_and_b32 vcc_lo, exec_lo, s0
	s_cbranch_vccnz .LBB0_8
; %bb.1:
	s_load_dwordx2 s[0:1], s[4:5], 0x10
	v_mov_b32_e32 v7, 0
	v_mov_b32_e32 v8, 0
	s_add_u32 s2, s18, 8
	s_addc_u32 s3, s19, 0
	v_mov_b32_e32 v1, v7
	s_add_u32 s6, s16, 8
	v_mov_b32_e32 v2, v8
	s_addc_u32 s7, s17, 0
	s_mov_b64 s[22:23], 1
	s_waitcnt lgkmcnt(0)
	s_add_u32 s20, s0, 8
	s_addc_u32 s21, s1, 0
.LBB0_2:                                ; =>This Inner Loop Header: Depth=1
	s_load_dwordx2 s[24:25], s[20:21], 0x0
                                        ; implicit-def: $vgpr5_vgpr6
	s_mov_b32 s0, exec_lo
	s_waitcnt lgkmcnt(0)
	v_or_b32_e32 v4, s25, v10
	v_cmpx_ne_u64_e32 0, v[3:4]
	s_xor_b32 s1, exec_lo, s0
	s_cbranch_execz .LBB0_4
; %bb.3:                                ;   in Loop: Header=BB0_2 Depth=1
	v_cvt_f32_u32_e32 v4, s24
	v_cvt_f32_u32_e32 v5, s25
	s_sub_u32 s0, 0, s24
	s_subb_u32 s26, 0, s25
	v_fmac_f32_e32 v4, 0x4f800000, v5
	v_rcp_f32_e32 v4, v4
	v_mul_f32_e32 v4, 0x5f7ffffc, v4
	v_mul_f32_e32 v5, 0x2f800000, v4
	v_trunc_f32_e32 v5, v5
	v_fmac_f32_e32 v4, 0xcf800000, v5
	v_cvt_u32_f32_e32 v5, v5
	v_cvt_u32_f32_e32 v4, v4
	v_mul_lo_u32 v6, s0, v5
	v_mul_hi_u32 v11, s0, v4
	v_mul_lo_u32 v12, s26, v4
	v_add_nc_u32_e32 v6, v11, v6
	v_mul_lo_u32 v11, s0, v4
	v_add_nc_u32_e32 v6, v6, v12
	v_mul_hi_u32 v12, v4, v11
	v_mul_lo_u32 v13, v4, v6
	v_mul_hi_u32 v14, v4, v6
	v_mul_hi_u32 v15, v5, v11
	v_mul_lo_u32 v11, v5, v11
	v_mul_hi_u32 v16, v5, v6
	v_mul_lo_u32 v6, v5, v6
	v_add_co_u32 v12, vcc_lo, v12, v13
	v_add_co_ci_u32_e32 v13, vcc_lo, 0, v14, vcc_lo
	v_add_co_u32 v11, vcc_lo, v12, v11
	v_add_co_ci_u32_e32 v11, vcc_lo, v13, v15, vcc_lo
	v_add_co_ci_u32_e32 v12, vcc_lo, 0, v16, vcc_lo
	v_add_co_u32 v6, vcc_lo, v11, v6
	v_add_co_ci_u32_e32 v11, vcc_lo, 0, v12, vcc_lo
	v_add_co_u32 v4, vcc_lo, v4, v6
	v_add_co_ci_u32_e32 v5, vcc_lo, v5, v11, vcc_lo
	v_mul_hi_u32 v6, s0, v4
	v_mul_lo_u32 v12, s26, v4
	v_mul_lo_u32 v11, s0, v5
	v_add_nc_u32_e32 v6, v6, v11
	v_mul_lo_u32 v11, s0, v4
	v_add_nc_u32_e32 v6, v6, v12
	v_mul_hi_u32 v12, v4, v11
	v_mul_lo_u32 v13, v4, v6
	v_mul_hi_u32 v14, v4, v6
	v_mul_hi_u32 v15, v5, v11
	v_mul_lo_u32 v11, v5, v11
	v_mul_hi_u32 v16, v5, v6
	v_mul_lo_u32 v6, v5, v6
	v_add_co_u32 v12, vcc_lo, v12, v13
	v_add_co_ci_u32_e32 v13, vcc_lo, 0, v14, vcc_lo
	v_add_co_u32 v11, vcc_lo, v12, v11
	v_add_co_ci_u32_e32 v11, vcc_lo, v13, v15, vcc_lo
	v_add_co_ci_u32_e32 v12, vcc_lo, 0, v16, vcc_lo
	v_add_co_u32 v6, vcc_lo, v11, v6
	v_add_co_ci_u32_e32 v11, vcc_lo, 0, v12, vcc_lo
	v_add_co_u32 v6, vcc_lo, v4, v6
	v_add_co_ci_u32_e32 v13, vcc_lo, v5, v11, vcc_lo
	v_mul_hi_u32 v15, v9, v6
	v_mad_u64_u32 v[11:12], null, v10, v6, 0
	v_mad_u64_u32 v[4:5], null, v9, v13, 0
	;; [unrolled: 1-line block ×3, first 2 shown]
	v_add_co_u32 v4, vcc_lo, v15, v4
	v_add_co_ci_u32_e32 v5, vcc_lo, 0, v5, vcc_lo
	v_add_co_u32 v4, vcc_lo, v4, v11
	v_add_co_ci_u32_e32 v4, vcc_lo, v5, v12, vcc_lo
	v_add_co_ci_u32_e32 v5, vcc_lo, 0, v14, vcc_lo
	v_add_co_u32 v11, vcc_lo, v4, v13
	v_add_co_ci_u32_e32 v6, vcc_lo, 0, v5, vcc_lo
	v_mul_lo_u32 v12, s25, v11
	v_mad_u64_u32 v[4:5], null, s24, v11, 0
	v_mul_lo_u32 v13, s24, v6
	v_sub_co_u32 v4, vcc_lo, v9, v4
	v_add3_u32 v5, v5, v13, v12
	v_sub_nc_u32_e32 v12, v10, v5
	v_subrev_co_ci_u32_e64 v12, s0, s25, v12, vcc_lo
	v_add_co_u32 v13, s0, v11, 2
	v_add_co_ci_u32_e64 v14, s0, 0, v6, s0
	v_sub_co_u32 v15, s0, v4, s24
	v_sub_co_ci_u32_e32 v5, vcc_lo, v10, v5, vcc_lo
	v_subrev_co_ci_u32_e64 v12, s0, 0, v12, s0
	v_cmp_le_u32_e32 vcc_lo, s24, v15
	v_cmp_eq_u32_e64 s0, s25, v5
	v_cndmask_b32_e64 v15, 0, -1, vcc_lo
	v_cmp_le_u32_e32 vcc_lo, s25, v12
	v_cndmask_b32_e64 v16, 0, -1, vcc_lo
	v_cmp_le_u32_e32 vcc_lo, s24, v4
	;; [unrolled: 2-line block ×3, first 2 shown]
	v_cndmask_b32_e64 v17, 0, -1, vcc_lo
	v_cmp_eq_u32_e32 vcc_lo, s25, v12
	v_cndmask_b32_e64 v4, v17, v4, s0
	v_cndmask_b32_e32 v12, v16, v15, vcc_lo
	v_add_co_u32 v15, vcc_lo, v11, 1
	v_add_co_ci_u32_e32 v16, vcc_lo, 0, v6, vcc_lo
	v_cmp_ne_u32_e32 vcc_lo, 0, v12
	v_cndmask_b32_e32 v5, v16, v14, vcc_lo
	v_cndmask_b32_e32 v12, v15, v13, vcc_lo
	v_cmp_ne_u32_e32 vcc_lo, 0, v4
	v_cndmask_b32_e32 v6, v6, v5, vcc_lo
	v_cndmask_b32_e32 v5, v11, v12, vcc_lo
.LBB0_4:                                ;   in Loop: Header=BB0_2 Depth=1
	s_andn2_saveexec_b32 s0, s1
	s_cbranch_execz .LBB0_6
; %bb.5:                                ;   in Loop: Header=BB0_2 Depth=1
	v_cvt_f32_u32_e32 v4, s24
	s_sub_i32 s1, 0, s24
	v_rcp_iflag_f32_e32 v4, v4
	v_mul_f32_e32 v4, 0x4f7ffffe, v4
	v_cvt_u32_f32_e32 v4, v4
	v_mul_lo_u32 v5, s1, v4
	v_mul_hi_u32 v5, v4, v5
	v_add_nc_u32_e32 v4, v4, v5
	v_mul_hi_u32 v4, v9, v4
	v_mul_lo_u32 v5, v4, s24
	v_add_nc_u32_e32 v6, 1, v4
	v_sub_nc_u32_e32 v5, v9, v5
	v_subrev_nc_u32_e32 v11, s24, v5
	v_cmp_le_u32_e32 vcc_lo, s24, v5
	v_cndmask_b32_e32 v5, v5, v11, vcc_lo
	v_cndmask_b32_e32 v4, v4, v6, vcc_lo
	v_cmp_le_u32_e32 vcc_lo, s24, v5
	v_add_nc_u32_e32 v6, 1, v4
	v_cndmask_b32_e32 v5, v4, v6, vcc_lo
	v_mov_b32_e32 v6, v3
.LBB0_6:                                ;   in Loop: Header=BB0_2 Depth=1
	s_or_b32 exec_lo, exec_lo, s0
	v_mul_lo_u32 v4, v6, s24
	v_mul_lo_u32 v13, v5, s25
	s_load_dwordx2 s[0:1], s[6:7], 0x0
	v_mad_u64_u32 v[11:12], null, v5, s24, 0
	s_load_dwordx2 s[24:25], s[2:3], 0x0
	s_add_u32 s22, s22, 1
	s_addc_u32 s23, s23, 0
	s_add_u32 s2, s2, 8
	s_addc_u32 s3, s3, 0
	s_add_u32 s6, s6, 8
	v_add3_u32 v4, v12, v13, v4
	v_sub_co_u32 v9, vcc_lo, v9, v11
	s_addc_u32 s7, s7, 0
	s_add_u32 s20, s20, 8
	v_sub_co_ci_u32_e32 v4, vcc_lo, v10, v4, vcc_lo
	s_addc_u32 s21, s21, 0
	s_waitcnt lgkmcnt(0)
	v_mul_lo_u32 v10, s0, v4
	v_mul_lo_u32 v11, s1, v9
	v_mad_u64_u32 v[7:8], null, s0, v9, v[7:8]
	v_mul_lo_u32 v4, s24, v4
	v_mul_lo_u32 v12, s25, v9
	v_mad_u64_u32 v[1:2], null, s24, v9, v[1:2]
	v_cmp_ge_u64_e64 s0, s[22:23], s[14:15]
	v_add3_u32 v8, v11, v8, v10
	v_add3_u32 v2, v12, v2, v4
	s_and_b32 vcc_lo, exec_lo, s0
	s_cbranch_vccnz .LBB0_9
; %bb.7:                                ;   in Loop: Header=BB0_2 Depth=1
	v_mov_b32_e32 v10, v6
	v_mov_b32_e32 v9, v5
	s_branch .LBB0_2
.LBB0_8:
	v_mov_b32_e32 v1, v7
	v_mov_b32_e32 v5, v9
	;; [unrolled: 1-line block ×4, first 2 shown]
.LBB0_9:
	s_load_dwordx2 s[0:1], s[4:5], 0x28
	v_mul_hi_u32 v4, 0x1818182, v0
	s_lshl_b64 s[4:5], s[14:15], 3
                                        ; implicit-def: $vgpr3
	s_add_u32 s2, s18, s4
	s_addc_u32 s3, s19, s5
	s_waitcnt lgkmcnt(0)
	v_cmp_gt_u64_e32 vcc_lo, s[0:1], v[5:6]
	v_cmp_le_u64_e64 s0, s[0:1], v[5:6]
	s_and_saveexec_b32 s1, s0
	s_xor_b32 s0, exec_lo, s1
; %bb.10:
	v_mul_u32_u24_e32 v3, 0xaa, v4
                                        ; implicit-def: $vgpr4
                                        ; implicit-def: $vgpr7_vgpr8
	v_sub_nc_u32_e32 v3, v0, v3
                                        ; implicit-def: $vgpr0
; %bb.11:
	s_andn2_saveexec_b32 s1, s0
	s_cbranch_execz .LBB0_13
; %bb.12:
	s_add_u32 s4, s16, s4
	s_addc_u32 s5, s17, s5
	v_lshlrev_b64 v[7:8], 2, v[7:8]
	s_load_dwordx2 s[4:5], s[4:5], 0x0
	s_waitcnt lgkmcnt(0)
	v_mul_lo_u32 v3, s5, v5
	v_mul_lo_u32 v11, s4, v6
	v_mad_u64_u32 v[9:10], null, s4, v5, 0
	v_add3_u32 v10, v10, v11, v3
	v_mul_u32_u24_e32 v3, 0xaa, v4
	v_lshlrev_b64 v[9:10], 2, v[9:10]
	v_sub_nc_u32_e32 v3, v0, v3
	v_lshlrev_b32_e32 v15, 2, v3
	v_add_co_u32 v0, s0, s8, v9
	v_add_co_ci_u32_e64 v4, s0, s9, v10, s0
	v_add_co_u32 v0, s0, v0, v7
	v_add_co_ci_u32_e64 v4, s0, v4, v8, s0
	;; [unrolled: 2-line block ×6, first 2 shown]
	s_clause 0xb
	global_load_dword v0, v[7:8], off
	global_load_dword v4, v[7:8], off offset:680
	global_load_dword v16, v[7:8], off offset:1360
	;; [unrolled: 1-line block ×11, first 2 shown]
	v_add_nc_u32_e32 v14, 0, v15
	v_add_nc_u32_e32 v15, 0x400, v14
	;; [unrolled: 1-line block ×6, first 2 shown]
	s_waitcnt vmcnt(10)
	ds_write2_b32 v14, v0, v4 offset1:170
	s_waitcnt vmcnt(8)
	ds_write2_b32 v15, v16, v7 offset0:84 offset1:254
	s_waitcnt vmcnt(6)
	ds_write2_b32 v19, v8, v17 offset0:40 offset1:210
	;; [unrolled: 2-line block ×5, first 2 shown]
.LBB0_13:
	s_or_b32 exec_lo, exec_lo, s1
	v_lshl_add_u32 v0, v3, 2, 0
	s_waitcnt lgkmcnt(0)
	s_barrier
	buffer_gl0_inv
	v_mov_b32_e32 v90, 0xbbf7
	ds_read2_b32 v[14:15], v0 offset1:120
	ds_read_b32 v35, v0 offset:7680
	v_add_nc_u32_e32 v33, 0x1a00, v0
	v_add_nc_u32_e32 v4, 0x200, v0
	;; [unrolled: 1-line block ×4, first 2 shown]
	ds_read2_b32 v[12:13], v33 offset0:16 offset1:136
	ds_read2_b32 v[16:17], v4 offset0:112 offset1:232
	;; [unrolled: 1-line block ×4, first 2 shown]
	v_mov_b32_e32 v78, 0xbbb2
	v_mov_b32_e32 v4, 0x3836
	v_add_nc_u32_e32 v34, 0xa00, v0
	v_add_nc_u32_e32 v8, 0x1200, v0
	v_mov_b32_e32 v102, 0x3964
	ds_read2_b32 v[24:25], v34 offset0:80 offset1:200
	ds_read2_b32 v[20:21], v8 offset0:48 offset1:168
	v_mov_b32_e32 v96, 0xb1e1
	v_mov_b32_e32 v7, 0x35c8
	v_mov_b32_e32 v134, 0x3bb2
	s_waitcnt lgkmcnt(6)
	v_pk_add_f16 v36, v15, v35 neg_lo:[0,1] neg_hi:[0,1]
	v_pk_add_f16 v45, v35, v15
	v_mov_b32_e32 v145, 0xb836
	v_mov_b32_e32 v147, 0x3bf7
	v_mov_b32_e32 v143, 0x3a62
	v_mul_f16_sdwa v55, v36, v90 dst_sel:DWORD dst_unused:UNUSED_PAD src0_sel:WORD_1 src1_sel:DWORD
	v_mul_f16_sdwa v65, v36, v78 dst_sel:DWORD dst_unused:UNUSED_PAD src0_sel:WORD_1 src1_sel:DWORD
	s_waitcnt lgkmcnt(4)
	v_pk_add_f16 v37, v16, v13 neg_lo:[0,1] neg_hi:[0,1]
	v_pk_add_f16 v43, v13, v16
	v_pk_add_f16 v38, v17, v12 neg_lo:[0,1] neg_hi:[0,1]
	v_fmamk_f16 v8, v45, 0x2de8, v55
	v_fmamk_f16 v9, v45, 0xb461, v65
	v_mul_f16_sdwa v64, v37, v4 dst_sel:DWORD dst_unused:UNUSED_PAD src0_sel:WORD_1 src1_sel:DWORD
	v_pk_add_f16 v40, v12, v17
	s_waitcnt lgkmcnt(2)
	v_pk_add_f16 v39, v22, v19 neg_lo:[0,1] neg_hi:[0,1]
	v_add_f16_e32 v4, v14, v8
	v_add_f16_e32 v8, v14, v9
	v_fmamk_f16 v10, v43, 0xbacd, v64
	v_mul_f16_sdwa v63, v38, v102 dst_sel:DWORD dst_unused:UNUSED_PAD src0_sel:WORD_1 src1_sel:DWORD
	v_mul_f16_sdwa v56, v37, v96 dst_sel:DWORD dst_unused:UNUSED_PAD src0_sel:WORD_1 src1_sel:DWORD
	v_mul_f16_sdwa v52, v39, v7 dst_sel:DWORD dst_unused:UNUSED_PAD src0_sel:WORD_1 src1_sel:DWORD
	v_mul_f16_sdwa v53, v38, v134 dst_sel:DWORD dst_unused:UNUSED_PAD src0_sel:WORD_1 src1_sel:DWORD
	v_add_f16_e32 v8, v10, v8
	v_fmamk_f16 v7, v40, 0x39e9, v63
	v_fmamk_f16 v9, v43, 0xbbdd, v56
	v_pk_add_f16 v41, v19, v22
	v_mov_b32_e32 v10, 0xbb29
	v_pk_add_f16 v42, v23, v18 neg_lo:[0,1] neg_hi:[0,1]
	v_add_f16_e32 v7, v7, v8
	v_add_nc_u32_e32 v8, 0xe00, v0
	v_add_f16_e32 v4, v9, v4
	v_fmamk_f16 v9, v40, 0xb461, v53
	v_mul_f16_sdwa v66, v39, v10 dst_sel:DWORD dst_unused:UNUSED_PAD src0_sel:WORD_1 src1_sel:DWORD
	v_pk_add_f16 v44, v18, v23
	ds_read2_b32 v[26:27], v8 offset0:64 offset1:184
	v_mul_f16_sdwa v54, v42, v10 dst_sel:DWORD dst_unused:UNUSED_PAD src0_sel:WORD_1 src1_sel:DWORD
	v_add_f16_e32 v4, v9, v4
	v_fmamk_f16 v9, v41, 0x3b76, v52
	s_waitcnt lgkmcnt(1)
	v_pk_add_f16 v46, v24, v21 neg_lo:[0,1] neg_hi:[0,1]
	v_mul_f16_sdwa v87, v42, v96 dst_sel:DWORD dst_unused:UNUSED_PAD src0_sel:WORD_1 src1_sel:DWORD
	v_fmamk_f16 v11, v44, 0x3722, v54
	v_pk_add_f16 v48, v21, v24
	v_add_f16_e32 v4, v9, v4
	v_fmamk_f16 v9, v41, 0x3722, v66
	v_mul_f16_sdwa v59, v46, v145 dst_sel:DWORD dst_unused:UNUSED_PAD src0_sel:WORD_1 src1_sel:DWORD
	v_fmamk_f16 v8, v44, 0xbbdd, v87
	v_mul_f16_sdwa v85, v46, v147 dst_sel:DWORD dst_unused:UNUSED_PAD src0_sel:WORD_1 src1_sel:DWORD
	v_pk_add_f16 v47, v25, v20 neg_lo:[0,1] neg_hi:[0,1]
	v_add_f16_e32 v7, v9, v7
	v_add_f16_e32 v4, v11, v4
	v_fmamk_f16 v9, v48, 0xbacd, v59
	v_pk_add_f16 v50, v20, v25
	v_mul_f16_sdwa v61, v47, v143 dst_sel:DWORD dst_unused:UNUSED_PAD src0_sel:WORD_1 src1_sel:DWORD
	v_add_f16_e32 v7, v8, v7
	v_fmamk_f16 v8, v48, 0x2de8, v85
	s_waitcnt lgkmcnt(0)
	v_pk_add_f16 v49, v26, v27 neg_lo:[0,1] neg_hi:[0,1]
	v_mov_b32_e32 v141, 0xb5c8
	v_add_f16_e32 v4, v9, v4
	v_pk_add_f16 v51, v27, v26
	v_add_f16_e32 v7, v8, v7
	v_fmamk_f16 v8, v50, 0xb8d2, v61
	v_mul_f16_sdwa v68, v49, v102 dst_sel:DWORD dst_unused:UNUSED_PAD src0_sel:WORD_1 src1_sel:DWORD
	v_mul_f16_sdwa v82, v47, v141 dst_sel:DWORD dst_unused:UNUSED_PAD src0_sel:WORD_1 src1_sel:DWORD
	v_mov_b32_e32 v150, 0xba62
	v_mul_f16_sdwa v57, v36, v141 dst_sel:DWORD dst_unused:UNUSED_PAD src0_sel:WORD_1 src1_sel:DWORD
	v_add_f16_e32 v4, v8, v4
	v_fmamk_f16 v8, v51, 0x39e9, v68
	v_mov_b32_e32 v149, 0xb964
	v_fmamk_f16 v9, v50, 0x3b76, v82
	v_mul_f16_sdwa v95, v49, v150 dst_sel:DWORD dst_unused:UNUSED_PAD src0_sel:WORD_1 src1_sel:DWORD
	v_lshrrev_b32_e32 v123, 16, v45
	v_add_f16_e32 v8, v8, v4
	v_fmamk_f16 v4, v45, 0x3b76, v57
	v_mul_f16_sdwa v58, v37, v149 dst_sel:DWORD dst_unused:UNUSED_PAD src0_sel:WORD_1 src1_sel:DWORD
	v_add_f16_e32 v7, v9, v7
	v_fmamk_f16 v9, v51, 0xb8d2, v95
	v_mul_f16_e32 v67, 0xb964, v36
	v_add_f16_e32 v4, v14, v4
	v_fmamk_f16 v11, v43, 0x39e9, v58
	v_mul_f16_sdwa v73, v36, v10 dst_sel:DWORD dst_unused:UNUSED_PAD src0_sel:WORD_1 src1_sel:DWORD
	v_add_f16_e32 v7, v9, v7
	v_fma_f16 v9, v123, 0x39e9, -v67
	v_lshrrev_b32_e32 v120, 16, v43
	v_mul_f16_e32 v60, 0xbbf7, v37
	v_add_f16_e32 v4, v11, v4
	v_fmamk_f16 v11, v45, 0x3722, v73
	v_mul_f16_sdwa v74, v37, v150 dst_sel:DWORD dst_unused:UNUSED_PAD src0_sel:WORD_1 src1_sel:DWORD
	v_mul_f16_e32 v112, 0xbbf7, v36
	v_add_f16_sdwa v9, v14, v9 dst_sel:DWORD dst_unused:UNUSED_PAD src0_sel:WORD_1 src1_sel:DWORD
	v_fma_f16 v28, v120, 0x2de8, -v60
	v_mul_f16_e32 v83, 0xbb29, v36
	v_add_f16_e32 v11, v14, v11
	v_fmamk_f16 v29, v43, 0xb8d2, v74
	v_fma_f16 v30, v123, 0x2de8, -v112
	v_mul_f16_e32 v115, 0xb1e1, v37
	v_add_f16_e32 v9, v28, v9
	v_fma_f16 v28, v123, 0x3722, -v83
	v_mul_f16_e32 v84, 0xba62, v37
	v_mul_f16_e32 v137, 0xbbb2, v36
	v_add_f16_e32 v11, v29, v11
	v_add_f16_sdwa v29, v14, v30 dst_sel:DWORD dst_unused:UNUSED_PAD src0_sel:WORD_1 src1_sel:DWORD
	v_fma_f16 v30, v120, 0xbbdd, -v115
	v_add_f16_sdwa v28, v14, v28 dst_sel:DWORD dst_unused:UNUSED_PAD src0_sel:WORD_1 src1_sel:DWORD
	v_fma_f16 v31, v120, 0xb8d2, -v84
	v_fma_f16 v69, v123, 0xb461, -v137
	v_mul_f16_e32 v138, 0x3836, v37
	v_mul_f16_sdwa v62, v38, v10 dst_sel:DWORD dst_unused:UNUSED_PAD src0_sel:WORD_1 src1_sel:DWORD
	v_add_f16_e32 v10, v30, v29
	v_mov_b32_e32 v30, 0x31e1
	v_add_f16_e32 v28, v31, v28
	v_add_f16_sdwa v29, v14, v69 dst_sel:DWORD dst_unused:UNUSED_PAD src0_sel:WORD_1 src1_sel:DWORD
	v_fma_f16 v31, v120, 0xbacd, -v138
	v_fmamk_f16 v69, v40, 0x3722, v62
	v_lshrrev_b32_e32 v130, 16, v40
	v_mul_f16_e32 v70, 0xba62, v38
	v_mul_f16_sdwa v81, v38, v30 dst_sel:DWORD dst_unused:UNUSED_PAD src0_sel:WORD_1 src1_sel:DWORD
	v_mul_f16_e32 v93, 0x31e1, v38
	v_add_f16_e32 v29, v31, v29
	v_add_f16_e32 v4, v69, v4
	v_fma_f16 v30, v130, 0xb8d2, -v70
	v_fmamk_f16 v31, v40, 0xbbdd, v81
	v_fma_f16 v69, v130, 0xbbdd, -v93
	v_mul_f16_e32 v121, 0x3bb2, v38
	v_mul_f16_e32 v139, 0x3964, v38
	v_add_f16_e32 v9, v30, v9
	v_add_f16_e32 v11, v31, v11
	;; [unrolled: 1-line block ×3, first 2 shown]
	v_fma_f16 v30, v130, 0xb461, -v121
	v_fma_f16 v31, v130, 0x39e9, -v139
	v_mul_f16_sdwa v69, v39, v90 dst_sel:DWORD dst_unused:UNUSED_PAD src0_sel:WORD_1 src1_sel:DWORD
	v_lshrrev_b32_e32 v127, 16, v41
	v_mul_f16_e32 v72, 0xb1e1, v39
	v_mul_f16_sdwa v76, v39, v134 dst_sel:DWORD dst_unused:UNUSED_PAD src0_sel:WORD_1 src1_sel:DWORD
	v_add_f16_e32 v10, v30, v10
	v_add_f16_e32 v29, v31, v29
	v_fmamk_f16 v30, v41, 0x2de8, v69
	v_fma_f16 v31, v127, 0xbbdd, -v72
	v_fmamk_f16 v71, v41, 0xb461, v76
	v_mul_f16_e32 v100, 0x3bb2, v39
	v_mul_f16_e32 v122, 0x35c8, v39
	v_add_f16_e32 v4, v30, v4
	v_add_f16_e32 v9, v31, v9
	;; [unrolled: 1-line block ×3, first 2 shown]
	v_fma_f16 v30, v127, 0xb461, -v100
	v_fma_f16 v31, v127, 0x3b76, -v122
	v_mul_f16_e32 v140, 0xbb29, v39
	v_mul_f16_sdwa v71, v42, v78 dst_sel:DWORD dst_unused:UNUSED_PAD src0_sel:WORD_1 src1_sel:DWORD
	v_lshrrev_b32_e32 v124, 16, v44
	v_add_f16_e32 v28, v30, v28
	v_add_f16_e32 v10, v31, v10
	v_fma_f16 v30, v127, 0x3722, -v140
	v_fmamk_f16 v31, v44, 0xb461, v71
	v_mul_f16_sdwa v79, v42, v102 dst_sel:DWORD dst_unused:UNUSED_PAD src0_sel:WORD_1 src1_sel:DWORD
	v_mul_f16_e32 v103, 0x3964, v42
	v_mul_f16_e32 v77, 0x3836, v42
	v_add_f16_e32 v29, v30, v29
	v_add_f16_e32 v4, v31, v4
	v_fmamk_f16 v30, v44, 0x39e9, v79
	v_fma_f16 v31, v124, 0x39e9, -v103
	v_mul_f16_e32 v126, 0xbb29, v42
	v_mul_f16_e32 v142, 0xb1e1, v42
	v_fma_f16 v75, v124, 0xbacd, -v77
	v_add_f16_e32 v11, v30, v11
	v_add_f16_e32 v28, v31, v28
	v_fma_f16 v30, v124, 0x3722, -v126
	v_fma_f16 v31, v124, 0xbbdd, -v142
	v_lshrrev_b32_e32 v131, 16, v48
	v_mul_f16_e32 v80, 0x3bb2, v46
	v_mul_f16_sdwa v88, v46, v141 dst_sel:DWORD dst_unused:UNUSED_PAD src0_sel:WORD_1 src1_sel:DWORD
	v_add_f16_e32 v9, v75, v9
	v_mul_f16_sdwa v75, v46, v150 dst_sel:DWORD dst_unused:UNUSED_PAD src0_sel:WORD_1 src1_sel:DWORD
	v_add_f16_e32 v10, v30, v10
	v_add_f16_e32 v29, v31, v29
	v_fma_f16 v30, v131, 0xb461, -v80
	v_mul_f16_e32 v109, 0xb5c8, v46
	v_mul_f16_e32 v144, 0x3bf7, v46
	v_fmamk_f16 v31, v48, 0x3b76, v88
	v_fmamk_f16 v86, v48, 0xb8d2, v75
	v_mul_f16_e32 v128, 0xb836, v46
	v_add_f16_e32 v9, v30, v9
	v_fma_f16 v30, v131, 0x3b76, -v109
	v_fma_f16 v89, v131, 0x2de8, -v144
	v_add_f16_e32 v11, v31, v11
	v_pk_mul_f16 v31, 0x3b7639e9, v45
	v_add_f16_e32 v4, v86, v4
	v_fma_f16 v86, v131, 0xbacd, -v128
	v_add_f16_e32 v28, v30, v28
	v_add_f16_e32 v29, v89, v29
	v_pk_mul_f16 v30, 0x39e92de8, v43
	v_pk_fma_f16 v89, 0xb964b5c8, v36, v31 op_sel:[0,0,1] op_sel_hi:[1,1,0]
	v_add_f16_e32 v10, v86, v10
	v_mul_f16_sdwa v86, v47, v145 dst_sel:DWORD dst_unused:UNUSED_PAD src0_sel:WORD_1 src1_sel:DWORD
	v_lshrrev_b32_e32 v132, 16, v50
	v_mul_f16_e32 v97, 0x3b29, v47
	v_pk_fma_f16 v91, 0xbbf7b964, v37, v30 op_sel:[0,0,1] op_sel_hi:[1,1,0]
	v_add_f16_sdwa v92, v14, v89 dst_sel:DWORD dst_unused:UNUSED_PAD src0_sel:DWORD src1_sel:WORD_1
	v_pk_mul_f16 v105, 0x3722b8d2, v40
	v_fmamk_f16 v94, v50, 0xbacd, v86
	v_fma_f16 v98, v132, 0x3722, -v97
	v_mul_f16_sdwa v101, v47, v90 dst_sel:DWORD dst_unused:UNUSED_PAD src0_sel:WORD_1 src1_sel:DWORD
	v_add_f16_sdwa v99, v91, v92 dst_sel:DWORD dst_unused:UNUSED_PAD src0_sel:WORD_1 src1_sel:DWORD
	v_pk_fma_f16 v92, 0xba62bb29, v38, v105 op_sel:[0,0,1] op_sel_hi:[1,1,0]
	v_pk_mul_f16 v110, 0x2de8bbdd, v41
	v_add_f16_e32 v151, v94, v4
	v_fmamk_f16 v4, v50, 0x2de8, v101
	v_add_f16_e32 v111, v98, v9
	v_add_f16_sdwa v9, v92, v99 dst_sel:DWORD dst_unused:UNUSED_PAD src0_sel:WORD_1 src1_sel:DWORD
	v_pk_fma_f16 v94, 0xb1e1bbf7, v39, v110 op_sel:[0,0,1] op_sel_hi:[1,1,0]
	v_pk_mul_f16 v113, 0xb461bacd, v44
	v_mul_f16_e32 v133, 0x3a62, v47
	v_add_f16_e32 v4, v4, v11
	v_mul_f16_e32 v125, 0xbbf7, v47
	v_add_f16_sdwa v9, v94, v9 dst_sel:DWORD dst_unused:UNUSED_PAD src0_sel:WORD_1 src1_sel:DWORD
	v_pk_fma_f16 v99, 0x3836bbb2, v42, v113 op_sel:[0,0,1] op_sel_hi:[1,1,0]
	v_pk_mul_f16 v11, 0xb8d2b461, v48
	v_fma_f16 v106, v132, 0xb8d2, -v133
	v_mul_f16_e32 v146, 0xb5c8, v47
	v_fma_f16 v104, v132, 0x2de8, -v125
	v_add_f16_sdwa v9, v99, v9 dst_sel:DWORD dst_unused:UNUSED_PAD src0_sel:WORD_1 src1_sel:DWORD
	v_pk_fma_f16 v98, 0x3bb2ba62, v46, v11 op_sel:[0,0,1] op_sel_hi:[1,1,0]
	v_pk_mul_f16 v114, 0xbacd3722, v50
	v_add_f16_e32 v152, v106, v10
	v_fma_f16 v10, v132, 0x3b76, -v146
	v_pk_fma_f16 v106, 0xb964b5c8, v36, v31 op_sel:[0,0,1] op_sel_hi:[1,1,0] neg_lo:[0,1,0] neg_hi:[0,1,0]
	v_add_f16_e32 v28, v104, v28
	v_add_f16_sdwa v9, v98, v9 dst_sel:DWORD dst_unused:UNUSED_PAD src0_sel:WORD_1 src1_sel:DWORD
	v_pk_fma_f16 v104, 0x3b29b836, v47, v114 op_sel:[0,0,1] op_sel_hi:[1,1,0]
	v_mul_f16_sdwa v117, v49, v145 dst_sel:DWORD dst_unused:UNUSED_PAD src0_sel:WORD_1 src1_sel:DWORD
	v_add_f16_e32 v31, v10, v29
	v_pk_fma_f16 v107, 0xbbf7b964, v37, v30 op_sel:[0,0,1] op_sel_hi:[1,1,0] neg_lo:[0,1,0] neg_hi:[0,1,0]
	v_add_f16_sdwa v10, v14, v106 dst_sel:DWORD dst_unused:UNUSED_PAD src0_sel:WORD_1 src1_sel:DWORD
	v_add_f16_sdwa v29, v104, v9 dst_sel:DWORD dst_unused:UNUSED_PAD src0_sel:WORD_1 src1_sel:DWORD
	v_fmamk_f16 v9, v51, 0xbacd, v117
	v_pk_fma_f16 v108, 0xba62bb29, v38, v105 op_sel:[0,0,1] op_sel_hi:[1,1,0] neg_lo:[0,1,0] neg_hi:[0,1,0]
	v_lshrrev_b32_e32 v136, 16, v51
	v_add_f16_e32 v10, v107, v10
	v_mul_f16_e32 v119, 0x35c8, v49
	v_add_f16_e32 v9, v9, v4
	v_pk_fma_f16 v110, 0xb1e1bbf7, v39, v110 op_sel:[0,0,1] op_sel_hi:[1,1,0] neg_lo:[0,1,0] neg_hi:[0,1,0]
	v_pk_fma_f16 v116, 0x3836bbb2, v42, v113 op_sel:[0,0,1] op_sel_hi:[1,1,0] neg_lo:[0,1,0] neg_hi:[0,1,0]
	v_add_f16_e32 v4, v108, v10
	v_fma_f16 v118, v136, 0x3b76, -v119
	v_pk_mul_f16 v30, 0xbbdd3b76, v51
	v_mul_f16_e32 v129, 0xb836, v49
	v_mul_f16_e32 v135, 0x3964, v49
	v_add_f16_e32 v113, v110, v4
	v_add_f16_e32 v4, v118, v111
	v_pk_fma_f16 v111, 0x3bb2ba62, v46, v11 op_sel:[0,0,1] op_sel_hi:[1,1,0] neg_lo:[0,1,0] neg_hi:[0,1,0]
	v_pk_fma_f16 v105, 0x35c8b1e1, v49, v30 op_sel:[0,0,1] op_sel_hi:[1,1,0]
	v_mul_f16_e32 v148, 0xba62, v49
	v_add_f16_e32 v11, v116, v113
	v_pk_fma_f16 v113, 0x3b29b836, v47, v114 op_sel:[0,0,1] op_sel_hi:[1,1,0] neg_lo:[0,1,0] neg_hi:[0,1,0]
	v_mul_f16_sdwa v114, v49, v96 dst_sel:DWORD dst_unused:UNUSED_PAD src0_sel:WORD_1 src1_sel:DWORD
	v_add_f16_sdwa v10, v105, v29 dst_sel:DWORD dst_unused:UNUSED_PAD src0_sel:WORD_1 src1_sel:DWORD
	v_fma_f16 v29, v136, 0xbacd, -v129
	v_add_f16_e32 v11, v111, v11
	v_fma_f16 v153, v136, 0x39e9, -v135
	v_fma_f16 v154, v136, 0xb8d2, -v148
	v_pk_fma_f16 v118, 0x35c8b1e1, v49, v30 op_sel:[0,0,1] op_sel_hi:[1,1,0] neg_lo:[0,1,0] neg_hi:[0,1,0]
	v_fmamk_f16 v155, v51, 0xbbdd, v114
	v_add_f16_e32 v156, v113, v11
	v_add_f16_e32 v29, v29, v28
	v_add_f16_e32 v28, v153, v152
	v_add_f16_e32 v30, v154, v31
	v_add_f16_e32 v11, v155, v151
	v_add_f16_e32 v31, v118, v156
	s_mov_b32 s1, exec_lo
	s_barrier
	buffer_gl0_inv
	v_cmpx_gt_u32_e32 0x78, v3
	s_cbranch_execz .LBB0_15
; %bb.14:
	v_mul_f16_e32 v151, 0xb8d2, v123
	v_mul_f16_e32 v152, 0xb461, v120
	v_mul_f16_sdwa v150, v36, v150 dst_sel:DWORD dst_unused:UNUSED_PAD src0_sel:WORD_1 src1_sel:DWORD
	v_mul_f16_sdwa v153, v37, v134 dst_sel:DWORD dst_unused:UNUSED_PAD src0_sel:WORD_1 src1_sel:DWORD
	v_mul_f16_e32 v154, 0x3b76, v130
	v_fmamk_f16 v134, v36, 0x3a62, v151
	v_fmamk_f16 v158, v37, 0xbbb2, v152
	;; [unrolled: 1-line block ×3, first 2 shown]
	v_mul_f16_sdwa v155, v38, v141 dst_sel:DWORD dst_unused:UNUSED_PAD src0_sel:WORD_1 src1_sel:DWORD
	v_mul_f16_e32 v156, 0xbacd, v127
	v_add_f16_sdwa v134, v14, v134 dst_sel:DWORD dst_unused:UNUSED_PAD src0_sel:WORD_1 src1_sel:DWORD
	v_fmamk_f16 v160, v43, 0xb461, v153
	v_add_f16_e32 v157, v14, v157
	v_fmamk_f16 v161, v38, 0x35c8, v154
	v_mul_f16_sdwa v159, v39, v145 dst_sel:DWORD dst_unused:UNUSED_PAD src0_sel:WORD_1 src1_sel:DWORD
	v_add_f16_e32 v134, v158, v134
	v_mul_f16_e32 v158, 0x2de8, v124
	v_fmamk_f16 v162, v40, 0x3b76, v155
	v_add_f16_e32 v157, v160, v157
	v_fmamk_f16 v160, v39, 0x3836, v156
	v_add_f16_e32 v134, v161, v134
	v_fmamk_f16 v161, v41, 0xbacd, v159
	v_mul_f16_sdwa v147, v42, v147 dst_sel:DWORD dst_unused:UNUSED_PAD src0_sel:WORD_1 src1_sel:DWORD
	v_add_f16_e32 v157, v162, v157
	v_fmamk_f16 v162, v42, 0xbbf7, v158
	v_add_f16_e32 v134, v160, v134
	v_mul_f16_e32 v160, 0x39e9, v131
	v_fmamk_f16 v163, v44, 0x2de8, v147
	v_add_f16_e32 v157, v161, v157
	v_mul_f16_sdwa v149, v46, v149 dst_sel:DWORD dst_unused:UNUSED_PAD src0_sel:WORD_1 src1_sel:DWORD
	v_add_f16_e32 v134, v162, v134
	v_fmamk_f16 v161, v46, 0x3964, v160
	v_mul_f16_e32 v162, 0xbbdd, v132
	v_mul_f16_e32 v165, 0xbacd, v123
	v_add_f16_e32 v157, v163, v157
	v_fmamk_f16 v163, v48, 0x39e9, v149
	v_add_f16_e32 v134, v161, v134
	v_fmamk_f16 v161, v47, 0x31e1, v162
	v_mul_f16_sdwa v164, v47, v96 dst_sel:DWORD dst_unused:UNUSED_PAD src0_sel:WORD_1 src1_sel:DWORD
	v_mul_f16_e32 v167, 0x3722, v120
	v_add_f16_e32 v157, v163, v157
	v_mul_f16_e32 v166, 0x3722, v136
	v_add_f16_e32 v134, v161, v134
	v_fmamk_f16 v161, v36, 0x3836, v165
	v_fmamk_f16 v163, v50, 0xbbdd, v164
	;; [unrolled: 1-line block ×3, first 2 shown]
	v_mul_f16_e32 v170, 0x2de8, v130
	v_mov_b32_e32 v168, 0x3b29
	v_add_f16_sdwa v161, v14, v161 dst_sel:DWORD dst_unused:UNUSED_PAD src0_sel:WORD_1 src1_sel:DWORD
	v_add_f16_e32 v157, v163, v157
	v_fmamk_f16 v163, v49, 0xbb29, v166
	v_mul_f16_sdwa v145, v36, v145 dst_sel:DWORD dst_unused:UNUSED_PAD src0_sel:WORD_1 src1_sel:DWORD
	v_mul_f16_e32 v171, 0xb8d2, v127
	v_add_f16_e32 v161, v169, v161
	v_fmamk_f16 v169, v38, 0x3bf7, v170
	v_add_f16_e32 v134, v163, v134
	v_mul_f16_sdwa v163, v49, v168 dst_sel:DWORD dst_unused:UNUSED_PAD src0_sel:WORD_1 src1_sel:DWORD
	v_fmamk_f16 v173, v45, 0xbacd, v145
	v_mul_f16_sdwa v168, v37, v168 dst_sel:DWORD dst_unused:UNUSED_PAD src0_sel:WORD_1 src1_sel:DWORD
	v_add_f16_e32 v161, v169, v161
	v_fmamk_f16 v169, v39, 0xba62, v171
	v_mul_f16_e32 v174, 0x3b76, v124
	v_add_f16_e32 v173, v14, v173
	v_fmamk_f16 v175, v43, 0x3722, v168
	v_mul_f16_sdwa v176, v38, v90 dst_sel:DWORD dst_unused:UNUSED_PAD src0_sel:WORD_1 src1_sel:DWORD
	v_add_f16_e32 v90, v169, v161
	v_fmamk_f16 v161, v42, 0x35c8, v174
	v_mul_f16_e32 v169, 0xbbdd, v131
	v_add_f16_e32 v173, v175, v173
	v_fmamk_f16 v175, v40, 0x2de8, v176
	v_mul_f16_sdwa v143, v39, v143 dst_sel:DWORD dst_unused:UNUSED_PAD src0_sel:WORD_1 src1_sel:DWORD
	v_add_f16_e32 v90, v161, v90
	v_fmamk_f16 v161, v46, 0x31e1, v169
	v_mul_f16_e32 v177, 0x39e9, v132
	v_fmac_f16_e32 v165, 0xb836, v36
	v_fmamk_f16 v172, v51, 0x3722, v163
	v_add_f16_e32 v173, v175, v173
	v_fmamk_f16 v175, v41, 0xb8d2, v143
	v_add_f16_e32 v161, v161, v90
	v_fmamk_f16 v178, v47, 0xb964, v177
	v_add_f16_sdwa v165, v14, v165 dst_sel:DWORD dst_unused:UNUSED_PAD src0_sel:WORD_1 src1_sel:DWORD
	v_fmac_f16_e32 v167, 0x3b29, v37
	v_add_f16_e32 v90, v172, v157
	v_add_f16_e32 v157, v175, v173
	v_mul_f16_sdwa v173, v46, v96 dst_sel:DWORD dst_unused:UNUSED_PAD src0_sel:WORD_1 src1_sel:DWORD
	v_add_f16_e32 v96, v178, v161
	v_mul_f16_sdwa v178, v49, v78 dst_sel:DWORD dst_unused:UNUSED_PAD src0_sel:WORD_1 src1_sel:DWORD
	v_add_f16_e32 v78, v167, v165
	v_fmac_f16_e32 v170, 0xbbf7, v38
	v_fma_f16 v145, v45, 0xbacd, -v145
	v_mul_f16_sdwa v141, v42, v141 dst_sel:DWORD dst_unused:UNUSED_PAD src0_sel:WORD_1 src1_sel:DWORD
	v_fmac_f16_e32 v151, 0xba62, v36
	v_fmac_f16_e32 v171, 0x3a62, v39
	v_add_f16_e32 v78, v170, v78
	v_add_f16_e32 v145, v14, v145
	v_fma_f16 v165, v43, 0x3722, -v168
	v_fmamk_f16 v172, v44, 0x3b76, v141
	v_add_f16_sdwa v151, v14, v151 dst_sel:DWORD dst_unused:UNUSED_PAD src0_sel:WORD_1 src1_sel:DWORD
	v_fmac_f16_e32 v152, 0x3bb2, v37
	v_add_f16_e32 v78, v171, v78
	v_fmac_f16_e32 v174, 0xb5c8, v42
	v_add_f16_e32 v145, v165, v145
	v_fma_f16 v165, v40, 0x2de8, -v176
	v_mul_f16_e32 v161, 0xb461, v136
	v_add_f16_e32 v157, v172, v157
	v_fmamk_f16 v172, v48, 0xbbdd, v173
	v_mul_f16_sdwa v175, v47, v102 dst_sel:DWORD dst_unused:UNUSED_PAD src0_sel:WORD_1 src1_sel:DWORD
	v_add_f16_e32 v151, v152, v151
	v_fmac_f16_e32 v154, 0xb5c8, v38
	v_add_f16_e32 v78, v174, v78
	v_fmac_f16_e32 v169, 0xb1e1, v46
	v_add_f16_e32 v145, v165, v145
	v_fma_f16 v143, v41, 0xb8d2, -v143
	v_fmamk_f16 v102, v49, 0x3bb2, v161
	v_add_f16_e32 v157, v172, v157
	v_fmamk_f16 v172, v50, 0x39e9, v175
	v_add_f16_e32 v151, v154, v151
	v_fmac_f16_e32 v156, 0xb836, v39
	v_add_f16_e32 v78, v169, v78
	v_fmac_f16_e32 v177, 0x3964, v47
	v_add_f16_e32 v143, v143, v145
	v_fma_f16 v141, v44, 0x3b76, -v141
	v_add_f16_e32 v96, v102, v96
	v_add_f16_e32 v102, v172, v157
	v_fmamk_f16 v157, v51, 0xb461, v178
	v_add_f16_e32 v145, v156, v151
	v_add_f16_e32 v151, v177, v78
	v_fmac_f16_e32 v161, 0xbbb2, v49
	v_add_f16_e32 v141, v141, v143
	v_fma_f16 v143, v48, 0xbbdd, -v173
	v_add_f16_e32 v78, v157, v102
	v_fma_f16 v150, v45, 0xb8d2, -v150
	v_add_f16_e32 v102, v161, v151
	v_mul_f16_e32 v151, 0xb461, v123
	v_add_f16_e32 v141, v143, v141
	v_fma_f16 v143, v50, 0x39e9, -v175
	v_add_f16_e32 v150, v14, v150
	v_fma_f16 v152, v51, 0xb461, -v178
	;; [unrolled: 2-line block ×3, first 2 shown]
	v_add_f16_e32 v141, v143, v141
	v_mul_f16_e32 v143, 0xbacd, v120
	v_fma_f16 v147, v44, 0x2de8, -v147
	v_add_f16_sdwa v137, v14, v137 dst_sel:DWORD dst_unused:UNUSED_PAD src0_sel:WORD_1 src1_sel:DWORD
	v_add_f16_e32 v150, v151, v150
	v_fma_f16 v151, v40, 0x3b76, -v155
	v_add_f16_e32 v138, v138, v143
	v_mul_f16_e32 v143, 0x39e9, v130
	v_fma_f16 v149, v48, 0x39e9, -v149
	v_fma_f16 v153, v51, 0x3722, -v163
	v_pk_add_f16 v15, v14, v15
	v_add_f16_e32 v137, v138, v137
	v_add_f16_e32 v138, v139, v143
	;; [unrolled: 1-line block ×3, first 2 shown]
	v_mul_f16_e32 v141, 0x3722, v127
	v_add_f16_e32 v143, v151, v150
	v_fma_f16 v150, v41, 0xbacd, -v159
	v_add_f16_e32 v137, v138, v137
	v_mul_f16_e32 v151, 0xb461, v45
	v_add_f16_e32 v140, v140, v141
	v_fma_f16 v152, v50, 0xbbdd, -v164
	v_add_f16_e32 v143, v150, v143
	v_mul_f16_e32 v150, 0xbbdd, v124
	v_sub_f16_e32 v65, v151, v65
	v_add_f16_e32 v137, v140, v137
	v_mul_f16_e32 v151, 0xbacd, v43
	v_add_f16_e32 v143, v147, v143
	v_add_f16_e32 v142, v142, v150
	v_mul_f16_e32 v147, 0x2de8, v131
	v_add_f16_e32 v65, v14, v65
	v_sub_f16_e32 v64, v151, v64
	v_add_f16_e32 v143, v149, v143
	v_add_f16_e32 v137, v142, v137
	;; [unrolled: 1-line block ×3, first 2 shown]
	v_mul_f16_e32 v149, 0x39e9, v40
	v_add_f16_e32 v64, v64, v65
	v_add_f16_e32 v143, v152, v143
	v_mul_f16_e32 v152, 0xbbdd, v44
	v_add_f16_e32 v137, v144, v137
	v_mul_f16_e32 v144, 0x3b76, v132
	v_sub_f16_e32 v63, v149, v63
	v_mul_f16_e32 v140, 0x39e9, v123
	v_mul_f16_e32 v142, 0x3722, v123
	;; [unrolled: 1-line block ×3, first 2 shown]
	v_add_f16_e32 v144, v146, v144
	v_mul_f16_e32 v146, 0x3722, v41
	v_add_f16_e32 v63, v63, v64
	v_mul_f16_e32 v123, 0x2de8, v123
	v_sub_f16_e32 v87, v152, v87
	v_add_f16_e32 v137, v144, v137
	v_sub_f16_e32 v66, v146, v66
	v_mul_f16_e32 v144, 0xb8d2, v136
	v_mul_f16_e32 v65, 0x2de8, v120
	;; [unrolled: 1-line block ×4, first 2 shown]
	v_add_f16_e32 v63, v66, v63
	v_add_f16_e32 v144, v148, v144
	v_mul_f16_e32 v148, 0x2de8, v48
	v_mul_f16_e32 v120, 0xbbdd, v120
	v_add_f16_e32 v112, v112, v123
	v_add_f16_e32 v63, v87, v63
	;; [unrolled: 1-line block ×3, first 2 shown]
	v_sub_f16_e32 v85, v148, v85
	v_mul_f16_e32 v144, 0x3b76, v50
	v_sub_f16_e32 v55, v147, v55
	v_mul_f16_e32 v152, 0xb8d2, v130
	v_mul_f16_e32 v148, 0xbbdd, v130
	v_add_f16_e32 v143, v153, v143
	v_mul_f16_e32 v153, 0xb461, v40
	v_mul_f16_e32 v130, 0xb461, v130
	v_add_f16_e32 v63, v85, v63
	v_sub_f16_e32 v82, v144, v82
	v_add_f16_e32 v115, v115, v120
	v_mul_f16_e32 v120, 0xb8d2, v51
	v_add_f16_sdwa v112, v14, v112 dst_sel:DWORD dst_unused:UNUSED_PAD src0_sel:WORD_1 src1_sel:DWORD
	v_sub_f16_e32 v56, v146, v56
	v_add_f16_e32 v55, v14, v55
	v_mul_f16_e32 v123, 0xbbdd, v127
	v_add_f16_e32 v63, v82, v63
	v_mul_f16_e32 v82, 0xb461, v127
	v_sub_f16_e32 v95, v120, v95
	v_mul_f16_e32 v120, 0x3b76, v41
	v_mul_f16_e32 v127, 0x3b76, v127
	v_add_f16_e32 v112, v115, v112
	v_add_f16_e32 v121, v121, v130
	;; [unrolled: 1-line block ×3, first 2 shown]
	v_sub_f16_e32 v53, v153, v53
	v_mul_f16_e32 v147, 0xbacd, v124
	v_mul_f16_e32 v146, 0x39e9, v124
	v_add_f16_e32 v112, v121, v112
	v_mul_f16_e32 v121, 0x3722, v44
	v_mul_f16_e32 v124, 0x3722, v124
	v_add_f16_e32 v122, v122, v127
	v_add_f16_e32 v53, v53, v55
	v_sub_f16_e32 v52, v120, v52
	v_mul_f16_e32 v56, 0xb461, v131
	v_add_f16_e32 v124, v126, v124
	v_add_f16_e32 v112, v122, v112
	v_mul_f16_e32 v122, 0x3b76, v131
	v_mul_f16_e32 v126, 0xbacd, v48
	;; [unrolled: 1-line block ×3, first 2 shown]
	v_add_f16_e32 v52, v52, v53
	v_sub_f16_e32 v54, v121, v54
	v_mul_f16_e32 v150, 0x3722, v45
	v_mul_f16_e32 v149, 0xb8d2, v43
	v_add_f16_e32 v128, v128, v131
	v_mul_f16_e32 v131, 0xb8d2, v50
	v_add_f16_e32 v52, v54, v52
	v_sub_f16_e32 v54, v126, v59
	v_mul_f16_e32 v87, 0xbbdd, v40
	v_pk_add_f16 v15, v15, v16
	v_mul_f16_e32 v144, 0xb461, v41
	v_add_f16_e32 v67, v67, v140
	v_add_f16_e32 v52, v54, v52
	v_sub_f16_e32 v54, v131, v61
	v_sub_f16_e32 v61, v150, v73
	v_pk_add_f16 v15, v15, v17
	v_mul_f16_e32 v130, 0x39e9, v44
	v_add_f16_sdwa v67, v14, v67 dst_sel:DWORD dst_unused:UNUSED_PAD src0_sel:WORD_1 src1_sel:DWORD
	v_add_f16_e32 v52, v54, v52
	v_add_f16_e32 v54, v14, v61
	v_sub_f16_e32 v61, v149, v74
	v_add_f16_e32 v60, v60, v65
	v_pk_add_f16 v15, v15, v22
	v_mul_f16_e32 v153, 0x3b76, v48
	v_mul_f16_e32 v141, 0x3b76, v45
	v_add_f16_e32 v54, v61, v54
	v_sub_f16_e32 v61, v87, v81
	v_add_f16_e32 v60, v60, v67
	v_pk_add_f16 v15, v15, v23
	v_add_f16_e32 v22, v72, v123
	v_mul_f16_e32 v151, 0x39e9, v43
	v_add_f16_e32 v54, v61, v54
	v_sub_f16_e32 v61, v144, v76
	v_pk_add_f16 v15, v15, v24
	v_add_f16_e32 v83, v83, v142
	v_add_f16_e32 v23, v77, v147
	v_alignbit_b32 v138, v14, v14, 16
	v_add_f16_e32 v16, v61, v54
	v_sub_f16_e32 v54, v130, v79
	v_add_f16_e32 v61, v70, v152
	v_pk_add_f16 v15, v15, v25
	v_mul_f16_e32 v66, 0x3722, v40
	v_mul_f16_e32 v120, 0x3722, v132
	v_add_f16_e32 v16, v54, v16
	v_sub_f16_e32 v54, v153, v88
	v_add_f16_e32 v60, v61, v60
	v_add_f16_sdwa v83, v14, v83 dst_sel:DWORD dst_unused:UNUSED_PAD src0_sel:WORD_1 src1_sel:DWORD
	v_sub_f16_e32 v24, v151, v58
	v_pk_add_f16 v15, v15, v26
	v_add_f16_e32 v16, v54, v16
	v_sub_f16_e32 v54, v141, v57
	v_add_f16_e32 v22, v22, v60
	v_mul_f16_e32 v85, 0x2de8, v41
	v_mul_f16_e32 v53, 0x3b76, v136
	v_pk_add_f16 v15, v15, v27
	v_add_f16_e32 v14, v14, v54
	v_add_f16_e32 v22, v23, v22
	;; [unrolled: 1-line block ×3, first 2 shown]
	v_mul_f16_e32 v115, 0xb461, v44
	v_pk_add_f16 v15, v15, v20
	v_add_f16_e32 v14, v24, v14
	v_sub_f16_e32 v24, v66, v62
	v_add_f16_e32 v22, v23, v22
	v_add_f16_e32 v23, v97, v120
	v_mul_f16_e32 v127, 0xb8d2, v48
	v_mul_f16_e32 v142, 0x2de8, v50
	v_add_f16_e32 v14, v24, v14
	v_sub_f16_e32 v24, v85, v69
	v_add_f16_e32 v22, v23, v22
	v_add_f16_e32 v23, v119, v53
	v_pk_add_f16 v15, v15, v21
	v_mul_f16_e32 v55, 0xbacd, v50
	v_add_f16_e32 v14, v24, v14
	v_sub_f16_e32 v24, v115, v71
	v_add_f16_e32 v20, v23, v22
	v_bfi_b32 v22, 0xffff, v89, v106
	v_mul_f16_e32 v121, 0xbacd, v51
	v_sub_f16_e32 v57, v142, v101
	v_bfi_b32 v23, 0xffff, v91, v107
	v_add_f16_e32 v14, v24, v14
	v_sub_f16_e32 v21, v127, v75
	v_pk_add_f16 v15, v15, v18
	v_pk_add_f16 v18, v138, v22
	v_add_f16_e32 v64, v84, v64
	v_mul_f16_e32 v84, 0xbbdd, v51
	v_add_f16_e32 v16, v57, v16
	v_sub_f16_e32 v25, v121, v117
	v_bfi_b32 v24, 0xffff, v92, v108
	v_add_f16_e32 v14, v21, v14
	v_sub_f16_e32 v21, v55, v86
	v_pk_add_f16 v18, v23, v18
	v_add_f16_e32 v16, v25, v16
	v_bfi_b32 v25, 0xffff, v94, v110
	v_pk_mul_f16 v23, 0xbbdd, v45 op_sel_hi:[0,1]
	v_add_f16_e32 v14, v21, v14
	v_sub_f16_e32 v21, v84, v114
	v_pk_add_f16 v18, v24, v18
	v_add_f16_e32 v64, v64, v83
	v_add_f16_e32 v83, v93, v148
	v_bfi_b32 v26, 0xffff, v99, v116
	v_add_f16_e32 v14, v21, v14
	v_pk_add_f16 v18, v25, v18
	v_pk_fma_f16 v21, 0xb1e1, v36, v23 op_sel:[0,0,1] op_sel_hi:[0,1,0] neg_lo:[0,1,0] neg_hi:[0,1,0]
	v_pk_mul_f16 v24, 0x3b76, v43 op_sel_hi:[0,1]
	v_pk_fma_f16 v23, 0xb1e1, v36, v23 op_sel:[0,0,1] op_sel_hi:[0,1,0]
	v_add_f16_e32 v112, v124, v112
	v_mul_f16_e32 v124, 0x2de8, v132
	v_mul_f16_e32 v132, 0xb8d2, v132
	v_add_f16_e32 v64, v83, v64
	v_add_f16_e32 v82, v100, v82
	v_bfi_b32 v22, 0xffff, v98, v111
	v_pk_add_f16 v18, v26, v18
	v_pk_add_f16 v21, v138, v21
	v_pk_fma_f16 v25, 0x35c8, v37, v24 op_sel:[0,0,1] op_sel_hi:[0,1,0] neg_lo:[0,1,0] neg_hi:[0,1,0]
	v_pk_mul_f16 v26, 0xbacd, v40 op_sel_hi:[0,1]
	v_pk_add_f16 v23, v138, v23
	v_pk_fma_f16 v24, 0x35c8, v37, v24 op_sel:[0,0,1] op_sel_hi:[0,1,0]
	v_add_f16_e32 v132, v133, v132
	v_mul_f16_e32 v133, 0x39e9, v51
	v_add_f16_e32 v64, v82, v64
	v_add_f16_e32 v82, v103, v146
	v_pk_add_f16 v15, v15, v19
	v_bfi_b32 v19, 0xffff, v104, v113
	v_pk_add_f16 v18, v22, v18
	v_pk_add_f16 v21, v25, v21
	v_pk_fma_f16 v22, 0xb836, v38, v26 op_sel:[0,0,1] op_sel_hi:[0,1,0] neg_lo:[0,1,0] neg_hi:[0,1,0]
	v_pk_mul_f16 v25, 0x39e9, v41 op_sel_hi:[0,1]
	v_pk_add_f16 v23, v24, v23
	v_pk_fma_f16 v24, 0xb836, v38, v26 op_sel:[0,0,1] op_sel_hi:[0,1,0]
	v_sub_f16_e32 v68, v133, v68
	v_add_f16_e32 v64, v82, v64
	v_add_f16_e32 v74, v109, v122
	v_pk_add_f16 v12, v15, v12
	v_bfi_b32 v15, 0xffff, v105, v118
	v_pk_add_f16 v18, v19, v18
	v_pk_add_f16 v19, v22, v21
	v_pk_fma_f16 v21, 0x3964, v39, v25 op_sel:[0,0,1] op_sel_hi:[0,1,0] neg_lo:[0,1,0] neg_hi:[0,1,0]
	v_pk_mul_f16 v22, 0xb8d2, v44 op_sel_hi:[0,1]
	v_pk_add_f16 v23, v24, v23
	v_pk_fma_f16 v24, 0x3964, v39, v25 op_sel:[0,0,1] op_sel_hi:[0,1,0]
	v_fmac_f16_e32 v158, 0x3bf7, v42
	v_add_f16_e32 v112, v128, v112
	v_mul_f16_e32 v128, 0xbacd, v136
	v_add_f16_e32 v52, v68, v52
	v_add_f16_e32 v64, v74, v64
	v_add_f16_e32 v68, v125, v124
	v_pk_add_f16 v15, v15, v18
	v_pk_add_f16 v18, v21, v19
	v_pk_fma_f16 v19, 0xba62, v42, v22 op_sel:[0,0,1] op_sel_hi:[0,1,0] neg_lo:[0,1,0] neg_hi:[0,1,0]
	v_pk_mul_f16 v21, 0x3722, v48 op_sel_hi:[0,1]
	v_pk_add_f16 v23, v24, v23
	v_pk_fma_f16 v22, 0xba62, v42, v22 op_sel:[0,0,1] op_sel_hi:[0,1,0]
	v_add_f16_e32 v145, v158, v145
	v_fmac_f16_e32 v160, 0xb964, v46
	v_add_f16_e32 v64, v68, v64
	v_add_f16_e32 v17, v129, v128
	v_pk_add_f16 v18, v19, v18
	v_pk_fma_f16 v19, 0x3b29, v46, v21 op_sel:[0,0,1] op_sel_hi:[0,1,0] neg_lo:[0,1,0] neg_hi:[0,1,0]
	v_pk_mul_f16 v24, 0xb461, v50 op_sel_hi:[0,1]
	v_pk_add_f16 v22, v22, v23
	v_pk_fma_f16 v21, 0x3b29, v46, v21 op_sel:[0,0,1] op_sel_hi:[0,1,0]
	v_mul_f16_e32 v136, 0x39e9, v136
	v_add_f16_e32 v145, v160, v145
	v_fmac_f16_e32 v162, 0xb1e1, v47
	v_add_f16_e32 v17, v17, v64
	v_alignbit_b32 v20, v20, v15, 16
	v_pack_b32_f16 v14, v14, v15
	v_pk_add_f16 v15, v19, v18
	v_pk_fma_f16 v18, 0xbbb2, v47, v24 op_sel:[0,0,1] op_sel_hi:[0,1,0] neg_lo:[0,1,0] neg_hi:[0,1,0]
	v_pk_mul_f16 v19, 0x2de8, v51 op_sel_hi:[0,1]
	v_pk_add_f16 v21, v21, v22
	v_pk_fma_f16 v22, 0xbbb2, v47, v24 op_sel:[0,0,1] op_sel_hi:[0,1,0]
	v_add_f16_e32 v59, v95, v63
	v_add_f16_e32 v63, v132, v112
	;; [unrolled: 1-line block ×4, first 2 shown]
	v_fmac_f16_e32 v166, 0x3b29, v49
	v_pack_b32_f16 v16, v16, v17
	v_pk_add_f16 v15, v18, v15
	v_pk_fma_f16 v17, 0x3bf7, v49, v19 op_sel:[0,0,1] op_sel_hi:[0,1,0] neg_lo:[0,1,0] neg_hi:[0,1,0]
	v_pk_add_f16 v18, v22, v21
	v_pk_fma_f16 v19, 0x3bf7, v49, v19 op_sel:[0,0,1] op_sel_hi:[0,1,0]
	v_add_f16_e32 v63, v73, v63
	v_add_f16_e32 v145, v166, v145
	v_pk_add_f16 v12, v12, v13
	v_lshl_add_u32 v13, v3, 6, v0
	v_pk_add_f16 v15, v17, v15
	v_pk_add_f16 v17, v19, v18
	v_pack_b32_f16 v23, v52, v63
	v_pack_b32_f16 v21, v59, v137
	;; [unrolled: 1-line block ×3, first 2 shown]
	v_pk_add_f16 v12, v12, v35
	v_pack_b32_f16 v24, v139, v102
	ds_write2_b32 v13, v14, v20 offset0:1 offset1:2
	ds_write2_b32 v13, v16, v23 offset0:3 offset1:4
	;; [unrolled: 1-line block ×3, first 2 shown]
	ds_write2_b32 v13, v12, v24 offset1:7
	v_alignbit_b32 v12, v15, v17, 16
	v_alignbit_b32 v14, v17, v15, 16
	v_pack_b32_f16 v15, v90, v134
	v_pack_b32_f16 v16, v78, v96
	v_perm_b32 v17, v28, v8, 0x5040100
	v_perm_b32 v18, v30, v7, 0x5040100
	;; [unrolled: 1-line block ×5, first 2 shown]
	ds_write2_b32 v13, v14, v12 offset0:8 offset1:9
	ds_write2_b32 v13, v16, v15 offset0:10 offset1:11
	;; [unrolled: 1-line block ×4, first 2 shown]
	ds_write_b32 v13, v21 offset:64
.LBB0_15:
	s_or_b32 exec_lo, exec_lo, s1
	v_and_b32_e32 v26, 0xff, v3
	v_add_nc_u32_e32 v27, 0xaa, v3
	v_mov_b32_e32 v41, 0xf0f1
	v_add_nc_u32_e32 v45, 0x154, v3
	v_mov_b32_e32 v48, 3
	v_mul_lo_u16 v12, 0xf1, v26
	s_load_dwordx2 s[2:3], s[2:3], 0x0
	v_mul_u32_u24_sdwa v44, v27, v41 dst_sel:DWORD dst_unused:UNUSED_PAD src0_sel:WORD_0 src1_sel:DWORD
	v_mul_u32_u24_sdwa v47, v45, v41 dst_sel:DWORD dst_unused:UNUSED_PAD src0_sel:WORD_0 src1_sel:DWORD
	s_waitcnt lgkmcnt(0)
	v_lshrrev_b16 v43, 12, v12
	s_barrier
	v_lshrrev_b32_e32 v46, 20, v44
	v_lshrrev_b32_e32 v50, 20, v47
	buffer_gl0_inv
	v_mul_lo_u16 v12, v43, 17
	v_add_nc_u32_e32 v53, 0x1fe, v3
	v_add_nc_u32_e32 v54, 0x400, v0
	;; [unrolled: 1-line block ×3, first 2 shown]
	ds_read2_b32 v[22:23], v0 offset1:170
	v_sub_nc_u16 v49, v3, v12
	v_mul_lo_u16 v12, v46, 17
	v_mul_u32_u24_sdwa v58, v53, v41 dst_sel:DWORD dst_unused:UNUSED_PAD src0_sel:WORD_0 src1_sel:DWORD
	v_lshrrev_b32_e32 v47, 22, v47
	v_mov_b32_e32 v56, 0x110
	v_mul_u32_u24_sdwa v13, v49, v48 dst_sel:DWORD dst_unused:UNUSED_PAD src0_sel:BYTE_0 src1_sel:DWORD
	v_sub_nc_u16 v51, v27, v12
	v_mul_lo_u16 v12, v50, 17
	v_mov_b32_e32 v57, 2
	v_mul_lo_u16 v60, 0x44, v47
	v_lshlrev_b32_e32 v13, 2, v13
	v_mul_u32_u24_sdwa v16, v51, v48 dst_sel:DWORD dst_unused:UNUSED_PAD src0_sel:WORD_0 src1_sel:DWORD
	v_sub_nc_u16 v52, v45, v12
	v_mul_u32_u24_sdwa v43, v43, v56 dst_sel:DWORD dst_unused:UNUSED_PAD src0_sel:WORD_0 src1_sel:DWORD
	v_mul_u32_u24_e32 v46, 0x110, v46
	global_load_dwordx3 v[13:15], v13, s[12:13]
	v_lshlrev_b32_e32 v12, 2, v16
	v_mul_u32_u24_sdwa v19, v52, v48 dst_sel:DWORD dst_unused:UNUSED_PAD src0_sel:WORD_0 src1_sel:DWORD
	v_mul_u32_u24_e32 v50, 0x110, v50
	v_sub_nc_u16 v45, v45, v60
	v_lshlrev_b32_sdwa v49, v57, v49 dst_sel:DWORD dst_unused:UNUSED_PAD src0_sel:DWORD src1_sel:BYTE_0
	global_load_dwordx3 v[16:18], v12, s[12:13]
	v_lshlrev_b32_e32 v12, 2, v19
	v_lshlrev_b32_sdwa v51, v57, v51 dst_sel:DWORD dst_unused:UNUSED_PAD src0_sel:DWORD src1_sel:WORD_0
	v_lshlrev_b32_sdwa v52, v57, v52 dst_sel:DWORD dst_unused:UNUSED_PAD src0_sel:DWORD src1_sel:WORD_0
	v_add3_u32 v43, 0, v43, v49
	s_waitcnt lgkmcnt(0)
	v_lshrrev_b32_e32 v66, 16, v22
	global_load_dwordx3 v[19:21], v12, s[12:13]
	v_add_nc_u32_e32 v12, 0xf00, v0
	ds_read2_b32 v[24:25], v33 offset0:36 offset1:206
	ds_read2_b32 v[35:36], v34 offset0:40 offset1:210
	;; [unrolled: 1-line block ×5, first 2 shown]
	v_add3_u32 v46, 0, v46, v51
	v_add3_u32 v49, 0, v50, v52
	v_lshrrev_b32_e32 v67, 16, v23
	v_mul_lo_u16 v26, 0x79, v26
	v_lshrrev_b32_e32 v44, 22, v44
	v_lshrrev_b32_e32 v58, 22, v58
	s_waitcnt vmcnt(0) lgkmcnt(0)
	s_barrier
	v_lshrrev_b16 v26, 13, v26
	v_mul_lo_u16 v59, 0x44, v44
	v_mul_lo_u16 v61, 0x44, v58
	buffer_gl0_inv
	v_mul_u32_u24_e32 v44, 0x330, v44
	v_mul_lo_u16 v56, 0x44, v26
	v_lshrrev_b32_e32 v62, 16, v24
	v_lshrrev_b32_e32 v63, 16, v36
	;; [unrolled: 1-line block ×10, first 2 shown]
	v_sub_nc_u16 v56, v3, v56
	v_sub_nc_u16 v59, v27, v59
	v_mul_u32_u24_e32 v47, 0x330, v47
	v_cmp_gt_u32_e64 s0, 34, v3
	v_lshlrev_b32_sdwa v73, v48, v56 dst_sel:DWORD dst_unused:UNUSED_PAD src0_sel:DWORD src1_sel:BYTE_0
	v_lshlrev_b32_sdwa v74, v48, v59 dst_sel:DWORD dst_unused:UNUSED_PAD src0_sel:DWORD src1_sel:WORD_0
	v_mul_f16_sdwa v50, v13, v68 dst_sel:DWORD dst_unused:UNUSED_PAD src0_sel:WORD_1 src1_sel:DWORD
	v_mul_f16_sdwa v51, v13, v38 dst_sel:DWORD dst_unused:UNUSED_PAD src0_sel:WORD_1 src1_sel:DWORD
	;; [unrolled: 1-line block ×10, first 2 shown]
	v_mul_f16_sdwa v82, v62, v18 dst_sel:DWORD dst_unused:UNUSED_PAD src0_sel:DWORD src1_sel:WORD_1
	v_mul_f16_sdwa v83, v24, v18 dst_sel:DWORD dst_unused:UNUSED_PAD src0_sel:DWORD src1_sel:WORD_1
	;; [unrolled: 1-line block ×8, first 2 shown]
	v_fma_f16 v38, v13, v38, -v50
	v_fmac_f16_e32 v51, v13, v68
	v_fma_f16 v13, v14, v39, -v52
	v_fmac_f16_e32 v75, v14, v69
	;; [unrolled: 2-line block ×9, first 2 shown]
	v_sub_f16_e32 v13, v22, v13
	v_sub_f16_e32 v21, v66, v75
	;; [unrolled: 1-line block ×12, first 2 shown]
	v_fma_f16 v22, v22, 2.0, -v13
	v_fma_f16 v40, v66, 2.0, -v21
	;; [unrolled: 1-line block ×12, first 2 shown]
	v_sub_f16_e32 v24, v13, v24
	v_add_f16_e32 v14, v21, v14
	v_sub_f16_e32 v39, v19, v39
	v_add_f16_e32 v20, v36, v20
	v_sub_f16_e32 v38, v22, v38
	v_sub_f16_e32 v41, v40, v41
	;; [unrolled: 1-line block ×5, first 2 shown]
	v_add_f16_e32 v17, v25, v17
	v_sub_f16_e32 v15, v23, v15
	v_sub_f16_e32 v50, v42, v50
	v_fma_f16 v13, v13, 2.0, -v24
	v_fma_f16 v21, v21, 2.0, -v14
	;; [unrolled: 1-line block ×4, first 2 shown]
	v_pack_b32_f16 v14, v24, v14
	v_pack_b32_f16 v20, v39, v20
	v_fma_f16 v22, v22, 2.0, -v38
	v_fma_f16 v24, v40, 2.0, -v41
	;; [unrolled: 1-line block ×6, first 2 shown]
	v_pack_b32_f16 v17, v35, v17
	v_fma_f16 v23, v23, 2.0, -v15
	v_fma_f16 v35, v42, 2.0, -v50
	v_pack_b32_f16 v13, v13, v21
	v_pack_b32_f16 v21, v38, v41
	;; [unrolled: 1-line block ×4, first 2 shown]
	v_sub_nc_u16 v39, v53, v61
	v_pack_b32_f16 v16, v16, v25
	v_pack_b32_f16 v23, v23, v35
	;; [unrolled: 1-line block ×5, first 2 shown]
	ds_write2_b32 v43, v21, v14 offset0:34 offset1:51
	ds_write2_b32 v43, v22, v13 offset1:17
	ds_write2_b32 v46, v23, v16 offset1:17
	ds_write2_b32 v46, v15, v17 offset0:34 offset1:51
	ds_write2_b32 v49, v24, v19 offset1:17
	ds_write2_b32 v49, v18, v20 offset0:34 offset1:51
	v_lshlrev_b32_sdwa v13, v48, v45 dst_sel:DWORD dst_unused:UNUSED_PAD src0_sel:DWORD src1_sel:WORD_0
	s_waitcnt lgkmcnt(0)
	s_barrier
	buffer_gl0_inv
	s_clause 0x1
	global_load_dwordx2 v[15:16], v73, s[12:13] offset:204
	global_load_dwordx2 v[17:18], v74, s[12:13] offset:204
	v_lshlrev_b32_sdwa v14, v48, v39 dst_sel:DWORD dst_unused:UNUSED_PAD src0_sel:DWORD src1_sel:WORD_0
	s_clause 0x1
	global_load_dwordx2 v[19:20], v13, s[12:13] offset:204
	global_load_dwordx2 v[21:22], v14, s[12:13] offset:204
	v_mov_b32_e32 v13, 0x330
	ds_read2_b32 v[23:24], v0 offset1:170
	v_lshlrev_b32_sdwa v48, v57, v56 dst_sel:DWORD dst_unused:UNUSED_PAD src0_sel:DWORD src1_sel:BYTE_0
	v_lshlrev_b32_sdwa v45, v57, v45 dst_sel:DWORD dst_unused:UNUSED_PAD src0_sel:DWORD src1_sel:WORD_0
	v_lshlrev_b32_sdwa v49, v57, v39 dst_sel:DWORD dst_unused:UNUSED_PAD src0_sel:DWORD src1_sel:WORD_0
	v_mul_u32_u24_sdwa v46, v26, v13 dst_sel:DWORD dst_unused:UNUSED_PAD src0_sel:WORD_0 src1_sel:DWORD
	ds_read2_b32 v[13:14], v54 offset0:84 offset1:254
	ds_read2_b32 v[25:26], v33 offset0:36 offset1:206
	;; [unrolled: 1-line block ×5, first 2 shown]
	v_lshlrev_b32_sdwa v34, v57, v59 dst_sel:DWORD dst_unused:UNUSED_PAD src0_sel:DWORD src1_sel:WORD_0
	v_mul_u32_u24_e32 v33, 0x330, v58
	v_add3_u32 v46, 0, v46, v48
	v_add3_u32 v45, 0, v47, v45
	v_add_nc_u32_e32 v37, 0xc00, v0
	v_add3_u32 v44, 0, v44, v34
	v_add3_u32 v47, 0, v33, v49
	v_add_nc_u32_e32 v38, 0x1300, v0
	v_add_nc_u32_e32 v39, 0x1900, v0
	s_waitcnt vmcnt(0) lgkmcnt(0)
	s_barrier
	buffer_gl0_inv
	v_lshrrev_b32_e32 v48, 16, v23
	v_lshrrev_b32_e32 v49, 16, v24
	v_lshrrev_b32_e32 v50, 16, v13
	v_lshrrev_b32_e32 v34, 16, v25
	v_lshrrev_b32_e32 v53, 16, v40
	v_lshrrev_b32_e32 v54, 16, v42
	v_lshrrev_b32_e32 v55, 16, v41
	v_lshrrev_b32_e32 v56, 16, v43
	v_lshrrev_b32_e32 v51, 16, v36
	v_lshrrev_b32_e32 v52, 16, v26
	v_lshrrev_b32_e32 v57, 16, v35
	v_lshrrev_b32_e32 v33, 16, v14
	v_mul_f16_sdwa v58, v15, v53 dst_sel:DWORD dst_unused:UNUSED_PAD src0_sel:WORD_1 src1_sel:DWORD
	v_mul_f16_sdwa v59, v15, v40 dst_sel:DWORD dst_unused:UNUSED_PAD src0_sel:WORD_1 src1_sel:DWORD
	;; [unrolled: 1-line block ×10, first 2 shown]
	v_mul_f16_sdwa v68, v34, v20 dst_sel:DWORD dst_unused:UNUSED_PAD src0_sel:DWORD src1_sel:WORD_1
	v_mul_f16_sdwa v69, v25, v20 dst_sel:DWORD dst_unused:UNUSED_PAD src0_sel:DWORD src1_sel:WORD_1
	;; [unrolled: 1-line block ×6, first 2 shown]
	v_fma_f16 v40, v15, v40, -v58
	v_fmac_f16_e32 v59, v15, v53
	v_fma_f16 v15, v16, v42, -v60
	v_fmac_f16_e32 v61, v16, v54
	;; [unrolled: 2-line block ×8, first 2 shown]
	v_add_f16_e32 v22, v23, v40
	v_add_f16_e32 v25, v40, v15
	;; [unrolled: 1-line block ×9, first 2 shown]
	v_sub_f16_e32 v26, v59, v61
	v_add_f16_e32 v34, v48, v59
	v_sub_f16_e32 v36, v40, v15
	v_add_f16_e32 v43, v49, v63
	v_add_f16_e32 v15, v22, v15
	v_fma_f16 v22, -0.5, v25, v23
	v_fmac_f16_e32 v48, -0.5, v35
	v_add_f16_e32 v40, v24, v16
	v_add_f16_e32 v52, v13, v18
	;; [unrolled: 1-line block ×5, first 2 shown]
	v_sub_f16_e32 v42, v63, v65
	v_sub_f16_e32 v16, v16, v17
	v_fmac_f16_e32 v24, -0.5, v41
	v_fmac_f16_e32 v49, -0.5, v51
	v_sub_f16_e32 v54, v67, v69
	v_sub_f16_e32 v18, v18, v19
	;; [unrolled: 1-line block ×4, first 2 shown]
	v_fma_f16 v35, -0.5, v53, v13
	v_fmac_f16_e32 v50, -0.5, v56
	v_fmac_f16_e32 v14, -0.5, v58
	;; [unrolled: 1-line block ×3, first 2 shown]
	v_add_f16_e32 v23, v34, v61
	v_add_f16_e32 v25, v43, v65
	v_fmamk_f16 v43, v26, 0x3aee, v22
	v_fmac_f16_e32 v22, 0xbaee, v26
	v_fmamk_f16 v26, v36, 0xbaee, v48
	v_add_f16_e32 v17, v40, v17
	v_add_f16_e32 v19, v52, v19
	v_add_f16_e32 v40, v55, v69
	v_add_f16_e32 v21, v57, v21
	v_add_f16_e32 v41, v60, v73
	v_fmac_f16_e32 v48, 0x3aee, v36
	v_fmamk_f16 v36, v42, 0x3aee, v24
	v_fmac_f16_e32 v24, 0xbaee, v42
	v_fmamk_f16 v42, v16, 0xbaee, v49
	;; [unrolled: 2-line block ×6, first 2 shown]
	v_fmac_f16_e32 v33, 0x3aee, v20
	v_pack_b32_f16 v15, v15, v23
	v_pack_b32_f16 v20, v43, v26
	;; [unrolled: 1-line block ×12, first 2 shown]
	ds_write2_b32 v46, v15, v20 offset1:68
	ds_write_b32 v46, v21 offset:544
	ds_write2_b32 v44, v17, v22 offset1:68
	ds_write_b32 v44, v23 offset:544
	;; [unrolled: 2-line block ×4, first 2 shown]
	s_waitcnt lgkmcnt(0)
	s_barrier
	buffer_gl0_inv
	ds_read2_b32 v[17:18], v0 offset1:204
	ds_read2_b32 v[25:26], v32 offset0:24 offset1:228
	ds_read2_b32 v[23:24], v37 offset0:48 offset1:252
	;; [unrolled: 1-line block ×4, first 2 shown]
                                        ; implicit-def: $vgpr35
                                        ; implicit-def: $vgpr16
                                        ; implicit-def: $vgpr36
                                        ; implicit-def: $vgpr32
	s_and_saveexec_b32 s1, s0
	s_cbranch_execz .LBB0_17
; %bb.16:
	v_add_nc_u32_e32 v4, 0x200, v0
	v_add_nc_u32_e32 v7, 0x900, v0
	;; [unrolled: 1-line block ×3, first 2 shown]
	ds_read2_b32 v[9:10], v12 offset0:26 offset1:230
	ds_read2_b32 v[13:14], v4 offset0:42 offset1:246
	v_add_nc_u32_e32 v4, 0x1c00, v0
	ds_read2_b32 v[7:8], v7 offset0:2 offset1:206
	ds_read2_b32 v[11:12], v11 offset0:50 offset1:254
	;; [unrolled: 1-line block ×3, first 2 shown]
	s_waitcnt lgkmcnt(4)
	v_lshrrev_b32_e32 v29, 16, v9
	v_lshrrev_b32_e32 v4, 16, v10
	s_waitcnt lgkmcnt(3)
	v_lshrrev_b32_e32 v34, 16, v13
	v_lshrrev_b32_e32 v33, 16, v14
	s_waitcnt lgkmcnt(2)
	v_lshrrev_b32_e32 v30, 16, v7
	v_lshrrev_b32_e32 v28, 16, v8
	s_waitcnt lgkmcnt(1)
	v_lshrrev_b32_e32 v31, 16, v11
	v_lshrrev_b32_e32 v32, 16, v12
	s_waitcnt lgkmcnt(0)
	v_lshrrev_b32_e32 v36, 16, v15
	v_lshrrev_b32_e32 v35, 16, v16
.LBB0_17:
	s_or_b32 exec_lo, exec_lo, s1
	v_mul_u32_u24_e32 v40, 9, v3
	s_waitcnt lgkmcnt(0)
	v_lshrrev_b32_e32 v51, 16, v19
	v_lshrrev_b32_e32 v52, 16, v22
	v_lshrrev_b32_e32 v53, 16, v21
	v_lshrrev_b32_e32 v54, 16, v24
	v_lshlrev_b32_e32 v48, 2, v40
	v_lshrrev_b32_e32 v55, 16, v23
	v_lshrrev_b32_e32 v56, 16, v26
	;; [unrolled: 1-line block ×4, first 2 shown]
	s_clause 0x2
	global_load_dwordx4 v[40:43], v48, s[12:13] offset:748
	global_load_dwordx4 v[44:47], v48, s[12:13] offset:764
	global_load_dword v48, v48, s[12:13] offset:780
	v_lshrrev_b32_e32 v50, 16, v20
	v_lshrrev_b32_e32 v49, 16, v17
	v_add_nc_u32_e32 v59, 0x600, v0
	s_waitcnt vmcnt(0)
	s_barrier
	buffer_gl0_inv
	v_mul_f16_sdwa v60, v40, v58 dst_sel:DWORD dst_unused:UNUSED_PAD src0_sel:WORD_1 src1_sel:DWORD
	v_mul_f16_sdwa v62, v41, v57 dst_sel:DWORD dst_unused:UNUSED_PAD src0_sel:WORD_1 src1_sel:DWORD
	;; [unrolled: 1-line block ×15, first 2 shown]
	v_mul_f16_sdwa v76, v50, v48 dst_sel:DWORD dst_unused:UNUSED_PAD src0_sel:DWORD src1_sel:WORD_1
	v_mul_f16_sdwa v77, v20, v48 dst_sel:DWORD dst_unused:UNUSED_PAD src0_sel:DWORD src1_sel:WORD_1
	v_mul_f16_sdwa v61, v40, v18 dst_sel:DWORD dst_unused:UNUSED_PAD src0_sel:WORD_1 src1_sel:DWORD
	v_fma_f16 v18, v40, v18, -v60
	v_fma_f16 v25, v41, v25, -v62
	v_fmac_f16_e32 v63, v41, v57
	v_fma_f16 v26, v42, v26, -v64
	v_fma_f16 v23, v43, v23, -v66
	v_fmac_f16_e32 v67, v43, v55
	v_fma_f16 v24, v44, v24, -v68
	v_fmac_f16_e32 v69, v44, v54
	;; [unrolled: 2-line block ×5, first 2 shown]
	v_fmac_f16_e32 v65, v42, v56
	v_fma_f16 v20, v20, v48, -v76
	v_fmac_f16_e32 v77, v50, v48
	v_fmac_f16_e32 v61, v40, v58
	v_add_f16_e32 v40, v17, v25
	v_add_f16_e32 v41, v23, v21
	v_sub_f16_e32 v44, v25, v23
	v_sub_f16_e32 v45, v19, v21
	v_add_f16_e32 v46, v25, v19
	v_add_f16_e32 v50, v49, v63
	;; [unrolled: 1-line block ×9, first 2 shown]
	v_sub_f16_e32 v47, v23, v25
	v_sub_f16_e32 v48, v21, v19
	;; [unrolled: 1-line block ×9, first 2 shown]
	v_add_f16_e32 v74, v61, v65
	v_sub_f16_e32 v26, v26, v20
	v_sub_f16_e32 v78, v24, v22
	v_add_f16_e32 v23, v40, v23
	v_fma_f16 v40, -0.5, v41, v17
	v_add_f16_e32 v41, v44, v45
	v_fmac_f16_e32 v17, -0.5, v46
	v_add_f16_e32 v45, v50, v67
	v_fma_f16 v46, -0.5, v51, v49
	v_fmac_f16_e32 v49, -0.5, v55
	v_add_f16_e32 v24, v58, v24
	v_fma_f16 v50, -0.5, v60, v18
	v_fma_f16 v55, -0.5, v76, v61
	v_sub_f16_e32 v42, v63, v75
	v_sub_f16_e32 v56, v67, v63
	;; [unrolled: 1-line block ×7, first 2 shown]
	v_fmac_f16_e32 v18, -0.5, v68
	v_fmac_f16_e32 v61, -0.5, v81
	v_sub_f16_e32 v72, v22, v20
	v_sub_f16_e32 v80, v77, v73
	v_add_f16_e32 v44, v47, v48
	v_add_f16_e32 v47, v53, v54
	;; [unrolled: 1-line block ×5, first 2 shown]
	v_fmamk_f16 v24, v62, 0x3b9c, v50
	v_fmamk_f16 v66, v26, 0xbb9c, v55
	v_sub_f16_e32 v43, v67, v71
	v_add_f16_e32 v48, v56, v57
	v_add_f16_e32 v57, v65, v82
	v_fmamk_f16 v65, v63, 0xbb9c, v18
	v_fmac_f16_e32 v18, 0x3b9c, v63
	v_fmamk_f16 v67, v78, 0x3b9c, v61
	v_fmac_f16_e32 v61, 0xbb9c, v78
	v_sub_f16_e32 v25, v25, v19
	v_fmac_f16_e32 v50, 0xbb9c, v62
	v_fmac_f16_e32 v55, 0x3b9c, v26
	v_add_f16_e32 v56, v79, v80
	v_add_f16_e32 v21, v23, v21
	;; [unrolled: 1-line block ×4, first 2 shown]
	v_fmac_f16_e32 v24, 0x38b4, v63
	v_fmac_f16_e32 v66, 0xb8b4, v78
	v_add_f16_e32 v53, v70, v72
	v_fmamk_f16 v23, v42, 0x3b9c, v40
	v_fmac_f16_e32 v40, 0xbb9c, v42
	v_fmamk_f16 v58, v43, 0xbb9c, v17
	v_fmac_f16_e32 v17, 0x3b9c, v43
	v_fmac_f16_e32 v65, 0x38b4, v62
	;; [unrolled: 1-line block ×5, first 2 shown]
	v_fmamk_f16 v60, v25, 0xbb9c, v46
	v_fmac_f16_e32 v46, 0x3b9c, v25
	v_fmac_f16_e32 v50, 0xb8b4, v63
	;; [unrolled: 1-line block ×3, first 2 shown]
	v_fmamk_f16 v64, v52, 0x3b9c, v49
	v_fmac_f16_e32 v49, 0xbb9c, v52
	v_add_f16_e32 v19, v21, v19
	v_add_f16_e32 v21, v45, v75
	;; [unrolled: 1-line block ×4, first 2 shown]
	v_fmac_f16_e32 v24, 0x34f2, v51
	v_fmac_f16_e32 v66, 0x34f2, v56
	;; [unrolled: 1-line block ×16, first 2 shown]
	v_add_f16_e32 v25, v19, v20
	v_add_f16_e32 v26, v21, v22
	v_sub_f16_e32 v19, v19, v20
	v_sub_f16_e32 v20, v21, v22
	v_mul_f16_e32 v21, 0x38b4, v66
	v_mul_f16_e32 v43, 0xb8b4, v24
	v_fmac_f16_e32 v23, 0x34f2, v41
	v_fmac_f16_e32 v40, 0x34f2, v41
	;; [unrolled: 1-line block ×4, first 2 shown]
	v_mul_f16_e32 v22, 0x3b9c, v67
	v_mul_f16_e32 v41, 0x34f2, v18
	;; [unrolled: 1-line block ×4, first 2 shown]
	v_fmac_f16_e32 v60, 0x34f2, v47
	v_fmac_f16_e32 v46, 0x34f2, v47
	v_mul_f16_e32 v42, 0x3a79, v50
	v_mul_f16_e32 v47, 0x3a79, v55
	v_fmac_f16_e32 v21, 0x3a79, v24
	v_fmac_f16_e32 v43, 0x3a79, v66
	;; [unrolled: 1-line block ×4, first 2 shown]
	v_pack_b32_f16 v19, v19, v20
	v_fmac_f16_e32 v22, 0x34f2, v65
	v_fma_f16 v20, v61, 0x3b9c, -v41
	v_fmac_f16_e32 v44, 0x34f2, v67
	v_fma_f16 v18, v18, 0xbb9c, -v45
	v_pack_b32_f16 v25, v25, v26
	v_fma_f16 v24, v55, 0x38b4, -v42
	v_fma_f16 v26, v50, 0xb8b4, -v47
	v_add_f16_e32 v41, v23, v21
	v_add_f16_e32 v48, v60, v43
	;; [unrolled: 1-line block ×8, first 2 shown]
	v_sub_f16_e32 v21, v23, v21
	v_sub_f16_e32 v22, v58, v22
	;; [unrolled: 1-line block ×8, first 2 shown]
	v_pack_b32_f16 v40, v41, v48
	v_pack_b32_f16 v41, v42, v50
	;; [unrolled: 1-line block ×8, first 2 shown]
	ds_write2_b32 v0, v25, v40 offset1:204
	ds_write2_b32 v59, v41, v42 offset0:24 offset1:228
	ds_write2_b32 v37, v43, v19 offset0:48 offset1:252
	;; [unrolled: 1-line block ×4, first 2 shown]
	s_and_saveexec_b32 s1, s0
	s_cbranch_execz .LBB0_19
; %bb.18:
	v_subrev_nc_u32_e32 v17, 34, v3
	v_mov_b32_e32 v18, 0
	v_add_nc_u32_e32 v37, 0xf00, v0
	v_add_nc_u32_e32 v38, 0x1500, v0
	v_add_nc_u32_e32 v39, 0x1c00, v0
	v_cndmask_b32_e64 v17, v17, v27, s0
	v_add_nc_u32_e32 v27, 0x900, v0
	v_mul_i32_i24_e32 v17, 9, v17
	v_lshlrev_b64 v[17:18], 2, v[17:18]
	v_add_co_u32 v25, s0, s12, v17
	v_add_co_ci_u32_e64 v26, s0, s13, v18, s0
	s_clause 0x2
	global_load_dwordx4 v[17:20], v[25:26], off offset:748
	global_load_dwordx4 v[21:24], v[25:26], off offset:764
	global_load_dword v25, v[25:26], off offset:780
	v_add_nc_u32_e32 v26, 0x200, v0
	s_waitcnt vmcnt(2)
	v_mul_f16_sdwa v40, v7, v18 dst_sel:DWORD dst_unused:UNUSED_PAD src0_sel:DWORD src1_sel:WORD_1
	v_mul_f16_sdwa v41, v9, v20 dst_sel:DWORD dst_unused:UNUSED_PAD src0_sel:DWORD src1_sel:WORD_1
	s_waitcnt vmcnt(1)
	v_mul_f16_sdwa v42, v15, v24 dst_sel:DWORD dst_unused:UNUSED_PAD src0_sel:DWORD src1_sel:WORD_1
	v_mul_f16_sdwa v43, v11, v22 dst_sel:DWORD dst_unused:UNUSED_PAD src0_sel:DWORD src1_sel:WORD_1
	;; [unrolled: 1-line block ×4, first 2 shown]
	s_waitcnt vmcnt(0)
	v_mul_f16_sdwa v50, v35, v25 dst_sel:DWORD dst_unused:UNUSED_PAD src0_sel:DWORD src1_sel:WORD_1
	v_mul_f16_sdwa v51, v32, v23 dst_sel:DWORD dst_unused:UNUSED_PAD src0_sel:DWORD src1_sel:WORD_1
	;; [unrolled: 1-line block ×12, first 2 shown]
	v_fmac_f16_e32 v40, v30, v18
	v_fmac_f16_e32 v41, v29, v20
	;; [unrolled: 1-line block ×4, first 2 shown]
	v_fma_f16 v8, v8, v19, -v48
	v_fma_f16 v10, v10, v21, -v49
	;; [unrolled: 1-line block ×4, first 2 shown]
	v_fmac_f16_e32 v53, v28, v19
	v_fmac_f16_e32 v54, v35, v25
	;; [unrolled: 1-line block ×4, first 2 shown]
	v_fma_f16 v9, v9, v20, -v44
	v_fma_f16 v11, v11, v22, -v45
	;; [unrolled: 1-line block ×5, first 2 shown]
	v_fmac_f16_e32 v57, v33, v17
	v_sub_f16_e32 v4, v40, v41
	v_sub_f16_e32 v17, v42, v43
	v_add_f16_e32 v20, v41, v43
	v_sub_f16_e32 v21, v8, v10
	v_sub_f16_e32 v22, v16, v12
	v_add_f16_e32 v23, v10, v12
	v_sub_f16_e32 v28, v53, v55
	v_sub_f16_e32 v29, v54, v56
	v_add_f16_e32 v32, v55, v56
	v_add_f16_e32 v36, v40, v42
	v_add_f16_e32 v46, v8, v16
	;; [unrolled: 1-line block ×3, first 2 shown]
	v_sub_f16_e32 v19, v7, v15
	v_sub_f16_e32 v24, v53, v54
	v_sub_f16_e32 v25, v55, v56
	v_sub_f16_e32 v30, v10, v12
	v_sub_f16_e32 v31, v8, v16
	v_sub_f16_e32 v33, v41, v40
	v_sub_f16_e32 v35, v43, v42
	v_sub_f16_e32 v44, v10, v8
	v_sub_f16_e32 v47, v55, v53
	v_sub_f16_e32 v48, v56, v54
	v_add_f16_e32 v50, v34, v40
	v_add_f16_e32 v51, v57, v53
	v_sub_f16_e32 v52, v7, v9
	v_sub_f16_e32 v60, v9, v7
	v_add_f16_e32 v62, v7, v15
	v_add_f16_e32 v7, v13, v7
	;; [unrolled: 1-line block ×4, first 2 shown]
	v_fma_f16 v17, -0.5, v20, v34
	v_add_f16_e32 v20, v21, v22
	v_fma_f16 v21, -0.5, v23, v14
	v_add_f16_e32 v22, v28, v29
	v_fma_f16 v23, -0.5, v32, v57
	v_fma_f16 v29, -0.5, v36, v34
	;; [unrolled: 1-line block ×4, first 2 shown]
	v_sub_f16_e32 v45, v12, v16
	v_add_f16_e32 v58, v9, v11
	v_add_f16_e32 v28, v33, v35
	;; [unrolled: 1-line block ×7, first 2 shown]
	v_fmamk_f16 v10, v24, 0xbb9c, v21
	v_fmamk_f16 v46, v31, 0x3b9c, v23
	;; [unrolled: 1-line block ×4, first 2 shown]
	v_fmac_f16_e32 v14, 0xbb9c, v25
	v_fmac_f16_e32 v23, 0xbb9c, v31
	;; [unrolled: 1-line block ×4, first 2 shown]
	v_sub_f16_e32 v18, v9, v11
	v_sub_f16_e32 v40, v40, v42
	v_add_f16_e32 v32, v44, v45
	v_fma_f16 v44, -0.5, v58, v13
	v_fmamk_f16 v9, v19, 0x3b9c, v17
	v_fmac_f16_e32 v17, 0xbb9c, v19
	v_add_f16_e32 v35, v35, v43
	v_add_f16_e32 v36, v36, v56
	;; [unrolled: 1-line block ×4, first 2 shown]
	v_fmac_f16_e32 v46, 0x38b4, v30
	v_fmac_f16_e32 v49, 0x38b4, v31
	;; [unrolled: 1-line block ×5, first 2 shown]
	v_sub_f16_e32 v59, v41, v43
	v_fma_f16 v13, -0.5, v62, v13
	v_fmac_f16_e32 v48, 0xb8b4, v24
	v_fmac_f16_e32 v34, 0xb8b4, v31
	;; [unrolled: 1-line block ×3, first 2 shown]
	v_sub_f16_e32 v53, v15, v11
	v_sub_f16_e32 v61, v11, v15
	v_fmamk_f16 v47, v18, 0xbb9c, v29
	v_fmac_f16_e32 v29, 0x3b9c, v18
	v_fmamk_f16 v43, v40, 0xbb9c, v44
	v_fmac_f16_e32 v44, 0x3b9c, v40
	v_fmac_f16_e32 v9, 0x38b4, v18
	;; [unrolled: 1-line block ×3, first 2 shown]
	v_add_f16_e32 v11, v35, v42
	v_add_f16_e32 v12, v36, v54
	;; [unrolled: 1-line block ×4, first 2 shown]
	v_fmac_f16_e32 v46, 0x34f2, v22
	v_fmac_f16_e32 v49, 0x34f2, v33
	;; [unrolled: 1-line block ×5, first 2 shown]
	v_fmamk_f16 v50, v59, 0x3b9c, v13
	v_fmac_f16_e32 v13, 0xbb9c, v59
	v_fmac_f16_e32 v48, 0x34f2, v32
	;; [unrolled: 1-line block ×4, first 2 shown]
	v_add_f16_e32 v41, v52, v53
	v_fmac_f16_e32 v47, 0x38b4, v19
	v_fmac_f16_e32 v29, 0xb8b4, v19
	;; [unrolled: 1-line block ×5, first 2 shown]
	v_sub_f16_e32 v4, v11, v12
	v_sub_f16_e32 v15, v7, v8
	v_add_f16_e32 v11, v11, v12
	v_add_f16_e32 v7, v7, v8
	v_mul_f16_e32 v8, 0x3a79, v46
	v_mul_f16_e32 v12, 0x34f2, v49
	;; [unrolled: 1-line block ×5, first 2 shown]
	v_add_f16_e32 v45, v60, v61
	v_fmac_f16_e32 v50, 0xb8b4, v40
	v_fmac_f16_e32 v13, 0x38b4, v40
	v_mul_f16_e32 v20, 0x34f2, v48
	v_mul_f16_e32 v22, 0x3b9c, v34
	v_fmac_f16_e32 v43, 0xb8b4, v59
	v_mul_f16_e32 v19, 0x3a79, v10
	v_fmac_f16_e32 v47, 0x34f2, v28
	v_fmac_f16_e32 v29, 0x34f2, v28
	;; [unrolled: 1-line block ×3, first 2 shown]
	v_fma_f16 v8, v10, 0xb8b4, -v8
	v_fma_f16 v10, v48, 0xbb9c, -v12
	v_fmac_f16_e32 v16, 0x34f2, v34
	v_fmac_f16_e32 v18, 0x3a79, v23
	;; [unrolled: 1-line block ×5, first 2 shown]
	v_fma_f16 v12, v49, 0x3b9c, -v20
	v_fmac_f16_e32 v22, 0x34f2, v14
	v_fmac_f16_e32 v43, 0x34f2, v41
	v_pack_b32_f16 v7, v7, v11
	v_fma_f16 v11, v46, 0x38b4, -v19
	v_pack_b32_f16 v4, v15, v4
	v_sub_f16_e32 v14, v9, v8
	v_sub_f16_e32 v15, v47, v10
	;; [unrolled: 1-line block ×4, first 2 shown]
	v_add_f16_e32 v8, v9, v8
	v_add_f16_e32 v9, v47, v10
	;; [unrolled: 1-line block ×5, first 2 shown]
	v_sub_f16_e32 v23, v50, v12
	v_sub_f16_e32 v25, v13, v22
	v_add_f16_e32 v13, v13, v22
	v_add_f16_e32 v12, v50, v12
	v_sub_f16_e32 v21, v43, v11
	v_add_f16_e32 v11, v43, v11
	v_sub_f16_e32 v18, v44, v24
	v_pack_b32_f16 v16, v17, v16
	v_pack_b32_f16 v10, v13, v10
	;; [unrolled: 1-line block ×8, first 2 shown]
	ds_write2_b32 v26, v7, v16 offset0:42 offset1:246
	ds_write2_b32 v27, v10, v9 offset0:2 offset1:206
	;; [unrolled: 1-line block ×5, first 2 shown]
.LBB0_19:
	s_or_b32 exec_lo, exec_lo, s1
	s_waitcnt lgkmcnt(0)
	s_barrier
	buffer_gl0_inv
	ds_read_b32 v13, v0
	v_lshlrev_b32_e32 v4, 2, v3
	s_add_u32 s1, s12, 0x1f9c
	s_addc_u32 s4, s13, 0
	s_mov_b32 s5, exec_lo
                                        ; implicit-def: $vgpr12
                                        ; implicit-def: $vgpr11
                                        ; implicit-def: $vgpr10
                                        ; implicit-def: $vgpr7_vgpr8
	v_sub_nc_u32_e32 v9, 0, v4
	v_cmpx_ne_u32_e32 0, v3
	s_xor_b32 s5, exec_lo, s5
	s_cbranch_execz .LBB0_21
; %bb.20:
	v_mov_b32_e32 v4, 0
	v_lshlrev_b64 v[7:8], 2, v[3:4]
	v_add_co_u32 v7, s0, s1, v7
	v_add_co_ci_u32_e64 v8, s0, s4, v8, s0
	global_load_dword v7, v[7:8], off
	ds_read_b32 v8, v9 offset:8160
	s_waitcnt lgkmcnt(0)
	v_pk_add_f16 v10, v13, v8 neg_lo:[0,1] neg_hi:[0,1]
	v_pk_add_f16 v8, v8, v13
                                        ; implicit-def: $vgpr13
	v_bfi_b32 v11, 0xffff, v10, v8
	v_bfi_b32 v8, 0xffff, v8, v10
	v_pk_mul_f16 v11, v11, 0.5 op_sel_hi:[1,0]
	v_pk_mul_f16 v12, v8, 0.5 op_sel_hi:[1,0]
	s_waitcnt vmcnt(0)
	v_pk_mul_f16 v10, v7, v11 op_sel:[1,0]
	v_pk_mul_f16 v7, v7, v11 op_sel_hi:[0,1]
	v_pk_fma_f16 v8, v8, 0.5, v10 op_sel_hi:[1,0,1]
	v_sub_f16_e32 v11, v12, v10
	v_sub_f16_sdwa v10, v10, v12 dst_sel:DWORD dst_unused:UNUSED_PAD src0_sel:WORD_1 src1_sel:WORD_1
	v_pk_add_f16 v12, v8, v7 op_sel:[0,1] op_sel_hi:[1,0]
	v_pk_add_f16 v8, v8, v7 op_sel:[0,1] op_sel_hi:[1,0] neg_lo:[0,1] neg_hi:[0,1]
	v_sub_f16_sdwa v11, v11, v7 dst_sel:DWORD dst_unused:UNUSED_PAD src0_sel:DWORD src1_sel:WORD_1
	v_sub_f16_e32 v10, v10, v7
	v_bfi_b32 v12, 0xffff, v12, v8
	v_mov_b32_e32 v8, v4
	v_mov_b32_e32 v7, v3
.LBB0_21:
	s_andn2_saveexec_b32 s0, s5
	s_cbranch_execz .LBB0_23
; %bb.22:
	v_mov_b32_e32 v10, 0
	s_waitcnt lgkmcnt(0)
	v_alignbit_b32 v7, s0, v13, 16
	v_sub_f16_sdwa v11, v13, v13 dst_sel:DWORD dst_unused:UNUSED_PAD src0_sel:DWORD src1_sel:WORD_1
	ds_read_u16 v4, v10 offset:4082
	v_pk_add_f16 v12, v7, v13
	v_mov_b32_e32 v7, 0
	v_mov_b32_e32 v8, 0
	v_pack_b32_f16 v12, v12, 0
	s_waitcnt lgkmcnt(0)
	v_xor_b32_e32 v4, 0x8000, v4
	ds_write_b16 v10, v4 offset:4082
.LBB0_23:
	s_or_b32 exec_lo, exec_lo, s0
	v_lshlrev_b64 v[7:8], 2, v[7:8]
	v_add_co_u32 v7, s0, s1, v7
	v_add_co_ci_u32_e64 v8, s0, s4, v8, s0
	global_load_dword v4, v[7:8], off offset:680
	s_waitcnt lgkmcnt(0)
	s_clause 0x1
	global_load_dword v13, v[7:8], off offset:1360
	global_load_dword v14, v[7:8], off offset:2040
	v_add_co_u32 v7, s0, 0x800, v7
	v_add_co_ci_u32_e64 v8, s0, 0, v8, s0
	s_clause 0x1
	global_load_dword v15, v[7:8], off offset:672
	global_load_dword v7, v[7:8], off offset:1352
	ds_write_b16 v9, v10 offset:8162
	ds_write_b32 v0, v12
	ds_write_b16 v9, v11 offset:8160
	ds_read_b32 v8, v0 offset:680
	ds_read_b32 v10, v9 offset:7480
	s_waitcnt lgkmcnt(0)
	v_pk_add_f16 v11, v8, v10 neg_lo:[0,1] neg_hi:[0,1]
	v_pk_add_f16 v8, v8, v10
	v_bfi_b32 v10, 0xffff, v11, v8
	v_bfi_b32 v8, 0xffff, v8, v11
	v_pk_mul_f16 v10, v10, 0.5 op_sel_hi:[1,0]
	v_pk_mul_f16 v12, v8, 0.5 op_sel_hi:[1,0]
	s_waitcnt vmcnt(4)
	v_pk_mul_f16 v11, v4, v10 op_sel:[1,0]
	v_pk_mul_f16 v4, v4, v10 op_sel_hi:[0,1]
	v_pk_fma_f16 v8, v8, 0.5, v11 op_sel_hi:[1,0,1]
	v_sub_f16_sdwa v10, v11, v12 dst_sel:DWORD dst_unused:UNUSED_PAD src0_sel:WORD_1 src1_sel:WORD_1
	v_sub_f16_e32 v11, v12, v11
	v_pk_add_f16 v16, v8, v4 op_sel:[0,1] op_sel_hi:[1,0]
	v_pk_add_f16 v8, v8, v4 op_sel:[0,1] op_sel_hi:[1,0] neg_lo:[0,1] neg_hi:[0,1]
	v_sub_f16_e32 v10, v10, v4
	v_sub_f16_sdwa v4, v11, v4 dst_sel:DWORD dst_unused:UNUSED_PAD src0_sel:DWORD src1_sel:WORD_1
	v_bfi_b32 v8, 0xffff, v16, v8
	ds_write_b16 v9, v10 offset:7482
	ds_write_b32 v0, v8 offset:680
	ds_write_b16 v9, v4 offset:7480
	ds_read_b32 v4, v0 offset:1360
	ds_read_b32 v8, v9 offset:6800
	s_waitcnt lgkmcnt(0)
	v_pk_add_f16 v10, v4, v8 neg_lo:[0,1] neg_hi:[0,1]
	v_pk_add_f16 v4, v4, v8
	v_bfi_b32 v8, 0xffff, v10, v4
	v_bfi_b32 v4, 0xffff, v4, v10
	v_pk_mul_f16 v8, v8, 0.5 op_sel_hi:[1,0]
	v_pk_mul_f16 v11, v4, 0.5 op_sel_hi:[1,0]
	s_waitcnt vmcnt(3)
	v_pk_mul_f16 v10, v13, v8 op_sel:[1,0]
	v_pk_mul_f16 v8, v13, v8 op_sel_hi:[0,1]
	v_pk_fma_f16 v4, v4, 0.5, v10 op_sel_hi:[1,0,1]
	v_sub_f16_sdwa v12, v10, v11 dst_sel:DWORD dst_unused:UNUSED_PAD src0_sel:WORD_1 src1_sel:WORD_1
	v_sub_f16_e32 v10, v11, v10
	v_pk_add_f16 v13, v4, v8 op_sel:[0,1] op_sel_hi:[1,0]
	v_pk_add_f16 v4, v4, v8 op_sel:[0,1] op_sel_hi:[1,0] neg_lo:[0,1] neg_hi:[0,1]
	v_sub_f16_e32 v11, v12, v8
	v_sub_f16_sdwa v8, v10, v8 dst_sel:DWORD dst_unused:UNUSED_PAD src0_sel:DWORD src1_sel:WORD_1
	v_bfi_b32 v4, 0xffff, v13, v4
	ds_write_b16 v9, v11 offset:6802
	ds_write_b32 v0, v4 offset:1360
	;; [unrolled: 23-line block ×4, first 2 shown]
	ds_write_b16 v9, v8 offset:5440
	ds_read_b32 v4, v0 offset:3400
	ds_read_b32 v8, v9 offset:4760
	s_waitcnt lgkmcnt(0)
	v_pk_add_f16 v10, v4, v8 neg_lo:[0,1] neg_hi:[0,1]
	v_pk_add_f16 v4, v4, v8
	v_bfi_b32 v8, 0xffff, v10, v4
	v_bfi_b32 v4, 0xffff, v4, v10
	v_pk_mul_f16 v8, v8, 0.5 op_sel_hi:[1,0]
	v_pk_mul_f16 v4, v4, 0.5 op_sel_hi:[1,0]
	s_waitcnt vmcnt(0)
	v_pk_mul_f16 v11, v7, v8 op_sel_hi:[0,1]
	v_pk_fma_f16 v10, v7, v8, v4 op_sel:[1,0,0]
	v_pk_fma_f16 v12, v7, v8, v4 op_sel:[1,0,0] neg_lo:[1,0,0] neg_hi:[1,0,0]
	v_pk_fma_f16 v4, v7, v8, v4 op_sel:[1,0,0] neg_lo:[0,0,1] neg_hi:[0,0,1]
	v_pk_add_f16 v7, v10, v11 op_sel:[0,1] op_sel_hi:[1,0]
	v_pk_add_f16 v8, v10, v11 op_sel:[0,1] op_sel_hi:[1,0] neg_lo:[0,1] neg_hi:[0,1]
	v_pk_add_f16 v10, v12, v11 op_sel:[0,1] op_sel_hi:[1,0] neg_lo:[0,1] neg_hi:[0,1]
	;; [unrolled: 1-line block ×3, first 2 shown]
	v_bfi_b32 v7, 0xffff, v7, v8
	v_bfi_b32 v4, 0xffff, v10, v4
	ds_write_b32 v0, v7 offset:3400
	ds_write_b32 v9, v4 offset:4760
	s_waitcnt lgkmcnt(0)
	s_barrier
	buffer_gl0_inv
	s_and_saveexec_b32 s0, vcc_lo
	s_cbranch_execz .LBB0_26
; %bb.24:
	v_mul_lo_u32 v0, s3, v5
	v_mul_lo_u32 v7, s2, v6
	v_mad_u64_u32 v[5:6], null, s2, v5, 0
	v_mov_b32_e32 v4, 0
	v_lshl_add_u32 v21, v3, 2, 0
	v_add_nc_u32_e32 v9, 0x154, v3
	v_add_nc_u32_e32 v17, 0x2a8, v3
	v_mov_b32_e32 v8, v4
	v_add3_u32 v6, v6, v7, v0
	v_lshlrev_b64 v[0:1], 2, v[1:2]
	v_add_nc_u32_e32 v7, 0xaa, v3
	v_add_nc_u32_e32 v2, 0x400, v21
	ds_read2_b32 v[11:12], v21 offset1:170
	v_lshlrev_b64 v[5:6], 2, v[5:6]
	v_lshlrev_b64 v[13:14], 2, v[3:4]
	v_mov_b32_e32 v10, v4
	v_mov_b32_e32 v18, v4
	v_add_co_u32 v15, vcc_lo, s10, v5
	v_add_co_ci_u32_e32 v16, vcc_lo, s11, v6, vcc_lo
	v_lshlrev_b64 v[5:6], 2, v[7:8]
	ds_read2_b32 v[7:8], v2 offset0:84 offset1:254
	v_add_co_u32 v0, vcc_lo, v15, v0
	v_add_co_ci_u32_e32 v1, vcc_lo, v16, v1, vcc_lo
	v_add_nc_u32_e32 v2, 0xa00, v21
	v_add_co_u32 v13, vcc_lo, v0, v13
	v_lshlrev_b64 v[9:10], 2, v[9:10]
	v_add_co_ci_u32_e32 v14, vcc_lo, v1, v14, vcc_lo
	v_add_co_u32 v5, vcc_lo, v0, v5
	v_add_nc_u32_e32 v15, 0x1fe, v3
	v_mov_b32_e32 v16, v4
	ds_read2_b32 v[19:20], v2 offset0:40 offset1:210
	v_add_co_ci_u32_e32 v6, vcc_lo, v1, v6, vcc_lo
	v_add_co_u32 v9, vcc_lo, v0, v9
	v_add_co_ci_u32_e32 v10, vcc_lo, v1, v10, vcc_lo
	v_lshlrev_b64 v[15:16], 2, v[15:16]
	s_waitcnt lgkmcnt(2)
	global_store_dword v[13:14], v11, off
	global_store_dword v[5:6], v12, off
	s_waitcnt lgkmcnt(1)
	global_store_dword v[9:10], v7, off
	v_lshlrev_b64 v[5:6], 2, v[17:18]
	v_add_nc_u32_e32 v2, 0xf00, v21
	v_add_nc_u32_e32 v11, 0x352, v3
	v_mov_b32_e32 v12, v4
	v_add_co_u32 v9, vcc_lo, v0, v15
	v_add_co_ci_u32_e32 v10, vcc_lo, v1, v16, vcc_lo
	v_add_co_u32 v5, vcc_lo, v0, v5
	v_add_co_ci_u32_e32 v6, vcc_lo, v1, v6, vcc_lo
	global_store_dword v[9:10], v8, off
	s_waitcnt lgkmcnt(0)
	global_store_dword v[5:6], v19, off
	v_add_nc_u32_e32 v13, 0x3fc, v3
	v_mov_b32_e32 v14, v4
	ds_read2_b32 v[7:8], v2 offset0:60 offset1:230
	v_lshlrev_b64 v[5:6], 2, v[11:12]
	v_add_nc_u32_e32 v11, 0x4a6, v3
	v_add_nc_u32_e32 v2, 0x1400, v21
	v_lshlrev_b64 v[9:10], 2, v[13:14]
	v_add_nc_u32_e32 v13, 0x550, v3
	v_add_nc_u32_e32 v15, 0x74e, v3
	v_add_co_u32 v5, vcc_lo, v0, v5
	v_lshlrev_b64 v[11:12], 2, v[11:12]
	v_add_co_ci_u32_e32 v6, vcc_lo, v1, v6, vcc_lo
	v_add_co_u32 v9, vcc_lo, v0, v9
	v_add_co_ci_u32_e32 v10, vcc_lo, v1, v10, vcc_lo
	v_add_co_u32 v11, vcc_lo, v0, v11
	v_add_co_ci_u32_e32 v12, vcc_lo, v1, v12, vcc_lo
	global_store_dword v[5:6], v20, off
	s_waitcnt lgkmcnt(0)
	global_store_dword v[9:10], v7, off
	global_store_dword v[11:12], v8, off
	v_add_nc_u32_e32 v9, 0x5fa, v3
	v_mov_b32_e32 v10, v4
	ds_read2_b32 v[5:6], v2 offset0:80 offset1:250
	v_lshlrev_b64 v[7:8], 2, v[13:14]
	v_add_nc_u32_e32 v2, 0x1a00, v21
	v_add_nc_u32_e32 v11, 0x6a4, v3
	v_mov_b32_e32 v12, v4
	v_lshlrev_b64 v[9:10], 2, v[9:10]
	v_mov_b32_e32 v16, v4
	ds_read2_b32 v[13:14], v2 offset0:36 offset1:206
	v_add_co_u32 v7, vcc_lo, v0, v7
	v_lshlrev_b64 v[11:12], 2, v[11:12]
	v_add_co_ci_u32_e32 v8, vcc_lo, v1, v8, vcc_lo
	v_add_co_u32 v9, vcc_lo, v0, v9
	v_lshlrev_b64 v[15:16], 2, v[15:16]
	v_add_co_ci_u32_e32 v10, vcc_lo, v1, v10, vcc_lo
	v_add_co_u32 v11, vcc_lo, v0, v11
	v_add_co_ci_u32_e32 v12, vcc_lo, v1, v12, vcc_lo
	v_add_co_u32 v15, vcc_lo, v0, v15
	v_add_co_ci_u32_e32 v16, vcc_lo, v1, v16, vcc_lo
	v_cmp_eq_u32_e32 vcc_lo, 0xa9, v3
	s_waitcnt lgkmcnt(1)
	global_store_dword v[7:8], v5, off
	global_store_dword v[9:10], v6, off
	s_waitcnt lgkmcnt(0)
	global_store_dword v[11:12], v13, off
	global_store_dword v[15:16], v14, off
	s_and_b32 exec_lo, exec_lo, vcc_lo
	s_cbranch_execz .LBB0_26
; %bb.25:
	ds_read_b32 v2, v4 offset:8160
	v_add_co_u32 v0, vcc_lo, 0x1800, v0
	v_add_co_ci_u32_e32 v1, vcc_lo, 0, v1, vcc_lo
	s_waitcnt lgkmcnt(0)
	global_store_dword v[0:1], v2, off offset:2016
.LBB0_26:
	s_endpgm
	.section	.rodata,"a",@progbits
	.p2align	6, 0x0
	.amdhsa_kernel fft_rtc_fwd_len2040_factors_17_4_3_10_wgs_170_tpt_170_halfLds_half_op_CI_CI_unitstride_sbrr_R2C_dirReg
		.amdhsa_group_segment_fixed_size 0
		.amdhsa_private_segment_fixed_size 0
		.amdhsa_kernarg_size 104
		.amdhsa_user_sgpr_count 6
		.amdhsa_user_sgpr_private_segment_buffer 1
		.amdhsa_user_sgpr_dispatch_ptr 0
		.amdhsa_user_sgpr_queue_ptr 0
		.amdhsa_user_sgpr_kernarg_segment_ptr 1
		.amdhsa_user_sgpr_dispatch_id 0
		.amdhsa_user_sgpr_flat_scratch_init 0
		.amdhsa_user_sgpr_private_segment_size 0
		.amdhsa_wavefront_size32 1
		.amdhsa_uses_dynamic_stack 0
		.amdhsa_system_sgpr_private_segment_wavefront_offset 0
		.amdhsa_system_sgpr_workgroup_id_x 1
		.amdhsa_system_sgpr_workgroup_id_y 0
		.amdhsa_system_sgpr_workgroup_id_z 0
		.amdhsa_system_sgpr_workgroup_info 0
		.amdhsa_system_vgpr_workitem_id 0
		.amdhsa_next_free_vgpr 179
		.amdhsa_next_free_sgpr 27
		.amdhsa_reserve_vcc 1
		.amdhsa_reserve_flat_scratch 0
		.amdhsa_float_round_mode_32 0
		.amdhsa_float_round_mode_16_64 0
		.amdhsa_float_denorm_mode_32 3
		.amdhsa_float_denorm_mode_16_64 3
		.amdhsa_dx10_clamp 1
		.amdhsa_ieee_mode 1
		.amdhsa_fp16_overflow 0
		.amdhsa_workgroup_processor_mode 1
		.amdhsa_memory_ordered 1
		.amdhsa_forward_progress 0
		.amdhsa_shared_vgpr_count 0
		.amdhsa_exception_fp_ieee_invalid_op 0
		.amdhsa_exception_fp_denorm_src 0
		.amdhsa_exception_fp_ieee_div_zero 0
		.amdhsa_exception_fp_ieee_overflow 0
		.amdhsa_exception_fp_ieee_underflow 0
		.amdhsa_exception_fp_ieee_inexact 0
		.amdhsa_exception_int_div_zero 0
	.end_amdhsa_kernel
	.text
.Lfunc_end0:
	.size	fft_rtc_fwd_len2040_factors_17_4_3_10_wgs_170_tpt_170_halfLds_half_op_CI_CI_unitstride_sbrr_R2C_dirReg, .Lfunc_end0-fft_rtc_fwd_len2040_factors_17_4_3_10_wgs_170_tpt_170_halfLds_half_op_CI_CI_unitstride_sbrr_R2C_dirReg
                                        ; -- End function
	.section	.AMDGPU.csdata,"",@progbits
; Kernel info:
; codeLenInByte = 14312
; NumSgprs: 29
; NumVgprs: 179
; ScratchSize: 0
; MemoryBound: 0
; FloatMode: 240
; IeeeMode: 1
; LDSByteSize: 0 bytes/workgroup (compile time only)
; SGPRBlocks: 3
; VGPRBlocks: 22
; NumSGPRsForWavesPerEU: 29
; NumVGPRsForWavesPerEU: 179
; Occupancy: 5
; WaveLimiterHint : 1
; COMPUTE_PGM_RSRC2:SCRATCH_EN: 0
; COMPUTE_PGM_RSRC2:USER_SGPR: 6
; COMPUTE_PGM_RSRC2:TRAP_HANDLER: 0
; COMPUTE_PGM_RSRC2:TGID_X_EN: 1
; COMPUTE_PGM_RSRC2:TGID_Y_EN: 0
; COMPUTE_PGM_RSRC2:TGID_Z_EN: 0
; COMPUTE_PGM_RSRC2:TIDIG_COMP_CNT: 0
	.text
	.p2alignl 6, 3214868480
	.fill 48, 4, 3214868480
	.type	__hip_cuid_7cdf2360ee363a83,@object ; @__hip_cuid_7cdf2360ee363a83
	.section	.bss,"aw",@nobits
	.globl	__hip_cuid_7cdf2360ee363a83
__hip_cuid_7cdf2360ee363a83:
	.byte	0                               ; 0x0
	.size	__hip_cuid_7cdf2360ee363a83, 1

	.ident	"AMD clang version 19.0.0git (https://github.com/RadeonOpenCompute/llvm-project roc-6.4.0 25133 c7fe45cf4b819c5991fe208aaa96edf142730f1d)"
	.section	".note.GNU-stack","",@progbits
	.addrsig
	.addrsig_sym __hip_cuid_7cdf2360ee363a83
	.amdgpu_metadata
---
amdhsa.kernels:
  - .args:
      - .actual_access:  read_only
        .address_space:  global
        .offset:         0
        .size:           8
        .value_kind:     global_buffer
      - .offset:         8
        .size:           8
        .value_kind:     by_value
      - .actual_access:  read_only
        .address_space:  global
        .offset:         16
        .size:           8
        .value_kind:     global_buffer
      - .actual_access:  read_only
        .address_space:  global
        .offset:         24
        .size:           8
        .value_kind:     global_buffer
      - .actual_access:  read_only
        .address_space:  global
        .offset:         32
        .size:           8
        .value_kind:     global_buffer
      - .offset:         40
        .size:           8
        .value_kind:     by_value
      - .actual_access:  read_only
        .address_space:  global
        .offset:         48
        .size:           8
        .value_kind:     global_buffer
      - .actual_access:  read_only
        .address_space:  global
        .offset:         56
        .size:           8
        .value_kind:     global_buffer
      - .offset:         64
        .size:           4
        .value_kind:     by_value
      - .actual_access:  read_only
        .address_space:  global
        .offset:         72
        .size:           8
        .value_kind:     global_buffer
      - .actual_access:  read_only
        .address_space:  global
        .offset:         80
        .size:           8
        .value_kind:     global_buffer
      - .actual_access:  read_only
        .address_space:  global
        .offset:         88
        .size:           8
        .value_kind:     global_buffer
      - .actual_access:  write_only
        .address_space:  global
        .offset:         96
        .size:           8
        .value_kind:     global_buffer
    .group_segment_fixed_size: 0
    .kernarg_segment_align: 8
    .kernarg_segment_size: 104
    .language:       OpenCL C
    .language_version:
      - 2
      - 0
    .max_flat_workgroup_size: 170
    .name:           fft_rtc_fwd_len2040_factors_17_4_3_10_wgs_170_tpt_170_halfLds_half_op_CI_CI_unitstride_sbrr_R2C_dirReg
    .private_segment_fixed_size: 0
    .sgpr_count:     29
    .sgpr_spill_count: 0
    .symbol:         fft_rtc_fwd_len2040_factors_17_4_3_10_wgs_170_tpt_170_halfLds_half_op_CI_CI_unitstride_sbrr_R2C_dirReg.kd
    .uniform_work_group_size: 1
    .uses_dynamic_stack: false
    .vgpr_count:     179
    .vgpr_spill_count: 0
    .wavefront_size: 32
    .workgroup_processor_mode: 1
amdhsa.target:   amdgcn-amd-amdhsa--gfx1030
amdhsa.version:
  - 1
  - 2
...

	.end_amdgpu_metadata
